;; amdgpu-corpus repo=ROCm/rocFFT kind=compiled arch=gfx906 opt=O3
	.text
	.amdgcn_target "amdgcn-amd-amdhsa--gfx906"
	.amdhsa_code_object_version 6
	.protected	fft_rtc_back_len1014_factors_13_6_13_wgs_156_tpt_78_half_ip_CI_unitstride_sbrr_R2C_dirReg ; -- Begin function fft_rtc_back_len1014_factors_13_6_13_wgs_156_tpt_78_half_ip_CI_unitstride_sbrr_R2C_dirReg
	.globl	fft_rtc_back_len1014_factors_13_6_13_wgs_156_tpt_78_half_ip_CI_unitstride_sbrr_R2C_dirReg
	.p2align	8
	.type	fft_rtc_back_len1014_factors_13_6_13_wgs_156_tpt_78_half_ip_CI_unitstride_sbrr_R2C_dirReg,@function
fft_rtc_back_len1014_factors_13_6_13_wgs_156_tpt_78_half_ip_CI_unitstride_sbrr_R2C_dirReg: ; @fft_rtc_back_len1014_factors_13_6_13_wgs_156_tpt_78_half_ip_CI_unitstride_sbrr_R2C_dirReg
; %bb.0:
	s_load_dwordx2 s[12:13], s[4:5], 0x50
	s_load_dwordx4 s[8:11], s[4:5], 0x0
	s_load_dwordx2 s[2:3], s[4:5], 0x18
	v_mul_u32_u24_e32 v1, 0x349, v0
	v_lshrrev_b32_e32 v9, 16, v1
	v_mov_b32_e32 v3, 0
	s_waitcnt lgkmcnt(0)
	v_cmp_lt_u64_e64 s[0:1], s[10:11], 2
	v_mov_b32_e32 v1, 0
	v_lshl_add_u32 v5, s6, 1, v9
	v_mov_b32_e32 v6, v3
	s_and_b64 vcc, exec, s[0:1]
	v_mov_b32_e32 v2, 0
	s_cbranch_vccnz .LBB0_8
; %bb.1:
	s_load_dwordx2 s[0:1], s[4:5], 0x10
	s_add_u32 s6, s2, 8
	s_addc_u32 s7, s3, 0
	v_mov_b32_e32 v1, 0
	v_mov_b32_e32 v2, 0
	s_waitcnt lgkmcnt(0)
	s_add_u32 s14, s0, 8
	s_addc_u32 s15, s1, 0
	s_mov_b64 s[16:17], 1
.LBB0_2:                                ; =>This Inner Loop Header: Depth=1
	s_load_dwordx2 s[18:19], s[14:15], 0x0
                                        ; implicit-def: $vgpr7_vgpr8
	s_waitcnt lgkmcnt(0)
	v_or_b32_e32 v4, s19, v6
	v_cmp_ne_u64_e32 vcc, 0, v[3:4]
	s_and_saveexec_b64 s[0:1], vcc
	s_xor_b64 s[20:21], exec, s[0:1]
	s_cbranch_execz .LBB0_4
; %bb.3:                                ;   in Loop: Header=BB0_2 Depth=1
	v_cvt_f32_u32_e32 v4, s18
	v_cvt_f32_u32_e32 v7, s19
	s_sub_u32 s0, 0, s18
	s_subb_u32 s1, 0, s19
	v_mac_f32_e32 v4, 0x4f800000, v7
	v_rcp_f32_e32 v4, v4
	v_mul_f32_e32 v4, 0x5f7ffffc, v4
	v_mul_f32_e32 v7, 0x2f800000, v4
	v_trunc_f32_e32 v7, v7
	v_mac_f32_e32 v4, 0xcf800000, v7
	v_cvt_u32_f32_e32 v7, v7
	v_cvt_u32_f32_e32 v4, v4
	v_mul_lo_u32 v8, s0, v7
	v_mul_hi_u32 v10, s0, v4
	v_mul_lo_u32 v12, s1, v4
	v_mul_lo_u32 v11, s0, v4
	v_add_u32_e32 v8, v10, v8
	v_add_u32_e32 v8, v8, v12
	v_mul_hi_u32 v10, v4, v11
	v_mul_lo_u32 v12, v4, v8
	v_mul_hi_u32 v14, v4, v8
	v_mul_hi_u32 v13, v7, v11
	v_mul_lo_u32 v11, v7, v11
	v_mul_hi_u32 v15, v7, v8
	v_add_co_u32_e32 v10, vcc, v10, v12
	v_addc_co_u32_e32 v12, vcc, 0, v14, vcc
	v_mul_lo_u32 v8, v7, v8
	v_add_co_u32_e32 v10, vcc, v10, v11
	v_addc_co_u32_e32 v10, vcc, v12, v13, vcc
	v_addc_co_u32_e32 v11, vcc, 0, v15, vcc
	v_add_co_u32_e32 v8, vcc, v10, v8
	v_addc_co_u32_e32 v10, vcc, 0, v11, vcc
	v_add_co_u32_e32 v4, vcc, v4, v8
	v_addc_co_u32_e32 v7, vcc, v7, v10, vcc
	v_mul_lo_u32 v8, s0, v7
	v_mul_hi_u32 v10, s0, v4
	v_mul_lo_u32 v11, s1, v4
	v_mul_lo_u32 v12, s0, v4
	v_add_u32_e32 v8, v10, v8
	v_add_u32_e32 v8, v8, v11
	v_mul_lo_u32 v13, v4, v8
	v_mul_hi_u32 v14, v4, v12
	v_mul_hi_u32 v15, v4, v8
	;; [unrolled: 1-line block ×3, first 2 shown]
	v_mul_lo_u32 v12, v7, v12
	v_mul_hi_u32 v10, v7, v8
	v_add_co_u32_e32 v13, vcc, v14, v13
	v_addc_co_u32_e32 v14, vcc, 0, v15, vcc
	v_mul_lo_u32 v8, v7, v8
	v_add_co_u32_e32 v12, vcc, v13, v12
	v_addc_co_u32_e32 v11, vcc, v14, v11, vcc
	v_addc_co_u32_e32 v10, vcc, 0, v10, vcc
	v_add_co_u32_e32 v8, vcc, v11, v8
	v_addc_co_u32_e32 v10, vcc, 0, v10, vcc
	v_add_co_u32_e32 v4, vcc, v4, v8
	v_addc_co_u32_e32 v10, vcc, v7, v10, vcc
	v_mad_u64_u32 v[7:8], s[0:1], v5, v10, 0
	v_mul_hi_u32 v11, v5, v4
	v_add_co_u32_e32 v12, vcc, v11, v7
	v_addc_co_u32_e32 v13, vcc, 0, v8, vcc
	v_mad_u64_u32 v[7:8], s[0:1], v6, v4, 0
	v_mad_u64_u32 v[10:11], s[0:1], v6, v10, 0
	v_add_co_u32_e32 v4, vcc, v12, v7
	v_addc_co_u32_e32 v4, vcc, v13, v8, vcc
	v_addc_co_u32_e32 v7, vcc, 0, v11, vcc
	v_add_co_u32_e32 v4, vcc, v4, v10
	v_addc_co_u32_e32 v10, vcc, 0, v7, vcc
	v_mul_lo_u32 v11, s19, v4
	v_mul_lo_u32 v12, s18, v10
	v_mad_u64_u32 v[7:8], s[0:1], s18, v4, 0
	v_add3_u32 v8, v8, v12, v11
	v_sub_u32_e32 v11, v6, v8
	v_mov_b32_e32 v12, s19
	v_sub_co_u32_e32 v7, vcc, v5, v7
	v_subb_co_u32_e64 v11, s[0:1], v11, v12, vcc
	v_subrev_co_u32_e64 v12, s[0:1], s18, v7
	v_subbrev_co_u32_e64 v11, s[0:1], 0, v11, s[0:1]
	v_cmp_le_u32_e64 s[0:1], s19, v11
	v_cndmask_b32_e64 v13, 0, -1, s[0:1]
	v_cmp_le_u32_e64 s[0:1], s18, v12
	v_cndmask_b32_e64 v12, 0, -1, s[0:1]
	v_cmp_eq_u32_e64 s[0:1], s19, v11
	v_cndmask_b32_e64 v11, v13, v12, s[0:1]
	v_add_co_u32_e64 v12, s[0:1], 2, v4
	v_addc_co_u32_e64 v13, s[0:1], 0, v10, s[0:1]
	v_add_co_u32_e64 v14, s[0:1], 1, v4
	v_addc_co_u32_e64 v15, s[0:1], 0, v10, s[0:1]
	v_subb_co_u32_e32 v8, vcc, v6, v8, vcc
	v_cmp_ne_u32_e64 s[0:1], 0, v11
	v_cmp_le_u32_e32 vcc, s19, v8
	v_cndmask_b32_e64 v11, v15, v13, s[0:1]
	v_cndmask_b32_e64 v13, 0, -1, vcc
	v_cmp_le_u32_e32 vcc, s18, v7
	v_cndmask_b32_e64 v7, 0, -1, vcc
	v_cmp_eq_u32_e32 vcc, s19, v8
	v_cndmask_b32_e32 v7, v13, v7, vcc
	v_cmp_ne_u32_e32 vcc, 0, v7
	v_cndmask_b32_e64 v7, v14, v12, s[0:1]
	v_cndmask_b32_e32 v8, v10, v11, vcc
	v_cndmask_b32_e32 v7, v4, v7, vcc
.LBB0_4:                                ;   in Loop: Header=BB0_2 Depth=1
	s_andn2_saveexec_b64 s[0:1], s[20:21]
	s_cbranch_execz .LBB0_6
; %bb.5:                                ;   in Loop: Header=BB0_2 Depth=1
	v_cvt_f32_u32_e32 v4, s18
	s_sub_i32 s20, 0, s18
	v_rcp_iflag_f32_e32 v4, v4
	v_mul_f32_e32 v4, 0x4f7ffffe, v4
	v_cvt_u32_f32_e32 v4, v4
	v_mul_lo_u32 v7, s20, v4
	v_mul_hi_u32 v7, v4, v7
	v_add_u32_e32 v4, v4, v7
	v_mul_hi_u32 v4, v5, v4
	v_mul_lo_u32 v7, v4, s18
	v_add_u32_e32 v8, 1, v4
	v_sub_u32_e32 v7, v5, v7
	v_subrev_u32_e32 v10, s18, v7
	v_cmp_le_u32_e32 vcc, s18, v7
	v_cndmask_b32_e32 v7, v7, v10, vcc
	v_cndmask_b32_e32 v4, v4, v8, vcc
	v_add_u32_e32 v8, 1, v4
	v_cmp_le_u32_e32 vcc, s18, v7
	v_cndmask_b32_e32 v7, v4, v8, vcc
	v_mov_b32_e32 v8, v3
.LBB0_6:                                ;   in Loop: Header=BB0_2 Depth=1
	s_or_b64 exec, exec, s[0:1]
	v_mul_lo_u32 v4, v8, s18
	v_mul_lo_u32 v12, v7, s19
	v_mad_u64_u32 v[10:11], s[0:1], v7, s18, 0
	s_load_dwordx2 s[0:1], s[6:7], 0x0
	s_add_u32 s16, s16, 1
	v_add3_u32 v4, v11, v12, v4
	v_sub_co_u32_e32 v5, vcc, v5, v10
	v_subb_co_u32_e32 v4, vcc, v6, v4, vcc
	s_waitcnt lgkmcnt(0)
	v_mul_lo_u32 v4, s0, v4
	v_mul_lo_u32 v6, s1, v5
	v_mad_u64_u32 v[1:2], s[0:1], s0, v5, v[1:2]
	s_addc_u32 s17, s17, 0
	s_add_u32 s6, s6, 8
	v_add3_u32 v2, v6, v2, v4
	v_mov_b32_e32 v4, s10
	v_mov_b32_e32 v5, s11
	s_addc_u32 s7, s7, 0
	v_cmp_ge_u64_e32 vcc, s[16:17], v[4:5]
	s_add_u32 s14, s14, 8
	s_addc_u32 s15, s15, 0
	s_cbranch_vccnz .LBB0_9
; %bb.7:                                ;   in Loop: Header=BB0_2 Depth=1
	v_mov_b32_e32 v5, v7
	v_mov_b32_e32 v6, v8
	s_branch .LBB0_2
.LBB0_8:
	v_mov_b32_e32 v8, v6
	v_mov_b32_e32 v7, v5
.LBB0_9:
	s_lshl_b64 s[0:1], s[10:11], 3
	s_add_u32 s0, s2, s0
	s_addc_u32 s1, s3, s1
	s_load_dwordx2 s[2:3], s[0:1], 0x0
	s_load_dwordx2 s[6:7], s[4:5], 0x20
	v_and_b32_e32 v5, 1, v9
	s_waitcnt lgkmcnt(0)
	v_mul_lo_u32 v3, s2, v8
	v_mul_lo_u32 v4, s3, v7
	v_mad_u64_u32 v[1:2], s[0:1], s2, v7, v[1:2]
	s_mov_b32 s2, 0x3483484
	v_cmp_gt_u64_e32 vcc, s[6:7], v[7:8]
	v_add3_u32 v2, v4, v2, v3
	v_mul_hi_u32 v4, v0, s2
	v_cmp_le_u64_e64 s[2:3], s[6:7], v[7:8]
	v_cmp_eq_u32_e64 s[0:1], 1, v5
	v_mov_b32_e32 v3, 0x3f7
	v_mul_u32_u24_e32 v4, 0x4e, v4
	v_sub_u32_e32 v0, v0, v4
                                        ; implicit-def: $vgpr5
                                        ; implicit-def: $vgpr4
	s_and_saveexec_b64 s[4:5], s[2:3]
	s_xor_b64 s[2:3], exec, s[4:5]
; %bb.10:
	v_add_u32_e32 v5, 0x4e, v0
	v_add_u32_e32 v4, 0x9c, v0
; %bb.11:
	s_or_saveexec_b64 s[2:3], s[2:3]
	v_cndmask_b32_e64 v6, 0, v3, s[0:1]
	v_lshlrev_b64 v[2:3], 2, v[1:2]
	v_lshlrev_b32_e32 v23, 2, v6
	v_lshlrev_b32_e32 v22, 2, v0
	s_xor_b64 exec, exec, s[2:3]
	s_cbranch_execz .LBB0_13
; %bb.12:
	v_mov_b32_e32 v1, 0
	v_mov_b32_e32 v4, s13
	v_add_co_u32_e64 v6, s[0:1], s12, v2
	v_addc_co_u32_e64 v7, s[0:1], v4, v3, s[0:1]
	v_lshlrev_b64 v[4:5], 2, v[0:1]
	v_add3_u32 v18, 0, v23, v22
	v_add_co_u32_e64 v4, s[0:1], v6, v4
	v_addc_co_u32_e64 v5, s[0:1], v7, v5, s[0:1]
	global_load_dword v1, v[4:5], off offset:1560
	global_load_dword v6, v[4:5], off offset:1872
	;; [unrolled: 1-line block ×3, first 2 shown]
	global_load_dword v8, v[4:5], off
	global_load_dword v9, v[4:5], off offset:312
	global_load_dword v10, v[4:5], off offset:624
	;; [unrolled: 1-line block ×9, first 2 shown]
	v_add_u32_e32 v5, 0x4e, v0
	v_add_u32_e32 v4, 0x9c, v0
	;; [unrolled: 1-line block ×6, first 2 shown]
	s_waitcnt vmcnt(6)
	ds_write2_b32 v19, v11, v1 offset0:56 offset1:134
	ds_write2_b32 v20, v6, v7 offset0:84 offset1:162
	ds_write2_b32 v18, v8, v9 offset1:78
	s_waitcnt vmcnt(5)
	ds_write2_b32 v18, v10, v12 offset0:156 offset1:234
	s_waitcnt vmcnt(3)
	ds_write2_b32 v21, v13, v14 offset0:112 offset1:190
	;; [unrolled: 2-line block ×3, first 2 shown]
	s_waitcnt vmcnt(0)
	ds_write_b32 v18, v17 offset:3744
.LBB0_13:
	s_or_b64 exec, exec, s[2:3]
	v_add3_u32 v1, 0, v22, v23
	v_add_u32_e32 v21, 0, v23
	v_add_u32_e32 v6, 0x200, v1
	;; [unrolled: 1-line block ×5, first 2 shown]
	s_waitcnt lgkmcnt(0)
	s_barrier
	v_add_u32_e32 v20, v21, v22
	ds_read2_b32 v[27:28], v6 offset0:106 offset1:184
	ds_read2_b32 v[6:7], v24 offset0:134 offset1:212
	;; [unrolled: 1-line block ×3, first 2 shown]
	ds_read_b32 v12, v20
	ds_read2_b32 v[14:15], v1 offset0:78 offset1:156
	ds_read2_b32 v[16:17], v11 offset0:90 offset1:168
	s_mov_b32 s17, 0xba95
	s_movk_i32 s1, 0x388b
	s_movk_i32 s2, 0x3a95
	s_mov_b32 s21, 0xbbf1
	s_waitcnt lgkmcnt(0)
	v_pk_add_f16 v19, v14, v17 neg_lo:[0,1] neg_hi:[0,1]
	v_pk_add_f16 v26, v17, v14
	v_mul_f16_sdwa v18, v19, s17 dst_sel:DWORD dst_unused:UNUSED_PAD src0_sel:WORD_1 src1_sel:DWORD
	v_fma_f16 v29, v26, s1, v18
	v_add_f16_e32 v31, v12, v29
	v_mul_f16_sdwa v29, v26, s1 dst_sel:DWORD dst_unused:UNUSED_PAD src0_sel:WORD_1 src1_sel:DWORD
	v_fma_f16 v30, v19, s2, v29
	v_fma_f16 v29, v19, s17, v29
	v_add_f16_sdwa v36, v12, v29 dst_sel:DWORD dst_unused:UNUSED_PAD src0_sel:WORD_1 src1_sel:DWORD
	v_mul_f16_sdwa v29, v19, s21 dst_sel:DWORD dst_unused:UNUSED_PAD src0_sel:WORD_1 src1_sel:DWORD
	s_movk_i32 s4, 0x2fb7
	v_add_f16_sdwa v32, v12, v30 dst_sel:DWORD dst_unused:UNUSED_PAD src0_sel:WORD_1 src1_sel:DWORD
	v_fma_f16 v30, v26, s4, v29
	v_pk_add_f16 v13, v12, v14
	v_add_f16_e32 v37, v12, v30
	v_mul_f16_sdwa v30, v26, s4 dst_sel:DWORD dst_unused:UNUSED_PAD src0_sel:WORD_1 src1_sel:DWORD
	v_fma_f16 v29, v26, s4, -v29
	v_pk_add_f16 v13, v13, v15
	v_add_f16_e32 v39, v12, v29
	v_fma_f16 v29, v19, s21, v30
	s_mov_b32 s6, 0xbb7b
	v_add_u32_e32 v25, 0xa00, v1
	v_pk_add_f16 v13, v13, v27
	s_movk_i32 s5, 0x3bf1
	v_add_f16_sdwa v40, v12, v29 dst_sel:DWORD dst_unused:UNUSED_PAD src0_sel:WORD_1 src1_sel:DWORD
	v_mul_f16_sdwa v29, v19, s6 dst_sel:DWORD dst_unused:UNUSED_PAD src0_sel:WORD_1 src1_sel:DWORD
	s_mov_b32 s7, 0xb5ac
	ds_read2_b32 v[33:34], v25 offset0:62 offset1:140
	v_pk_add_f16 v13, v13, v28
	v_fma_f16 v38, v19, s5, v30
	v_fma_f16 v30, v26, s7, v29
	v_pk_add_f16 v13, v13, v6
	v_add_f16_e32 v41, v12, v30
	v_mul_f16_sdwa v30, v26, s7 dst_sel:DWORD dst_unused:UNUSED_PAD src0_sel:WORD_1 src1_sel:DWORD
	v_fma_f16 v29, v26, s7, -v29
	v_pk_add_f16 v13, v13, v7
	v_add_f16_e32 v43, v12, v29
	v_fma_f16 v29, v19, s6, v30
	s_mov_b32 s10, 0xb94e
	v_pk_add_f16 v13, v13, v8
	s_movk_i32 s19, 0x3b7b
	v_add_f16_sdwa v44, v12, v29 dst_sel:DWORD dst_unused:UNUSED_PAD src0_sel:WORD_1 src1_sel:DWORD
	v_mul_f16_sdwa v29, v19, s10 dst_sel:DWORD dst_unused:UNUSED_PAD src0_sel:WORD_1 src1_sel:DWORD
	s_mov_b32 s11, 0xb9fd
	v_pk_add_f16 v13, v13, v9
	v_fma_f16 v42, v19, s19, v30
	v_fma_f16 v30, v26, s11, v29
	s_waitcnt lgkmcnt(0)
	v_pk_add_f16 v13, v13, v33
	v_add_f16_e32 v45, v12, v30
	v_mul_f16_sdwa v30, v26, s11 dst_sel:DWORD dst_unused:UNUSED_PAD src0_sel:WORD_1 src1_sel:DWORD
	v_fma_f16 v29, v26, s11, -v29
	v_pk_add_f16 v13, v13, v34
	s_mov_b32 s18, 0xb770
	v_add_f16_e32 v47, v12, v29
	v_fma_f16 v29, v19, s10, v30
	v_pk_add_f16 v13, v13, v16
	v_pk_mul_f16 v14, v19, s18 op_sel_hi:[1,0]
	s_movk_i32 s3, 0x3b15
	s_movk_i32 s20, 0x394e
	v_add_f16_sdwa v48, v12, v29 dst_sel:DWORD dst_unused:UNUSED_PAD src0_sel:WORD_1 src1_sel:DWORD
	v_pk_add_f16 v29, v15, v16 neg_lo:[0,1] neg_hi:[0,1]
	v_pk_add_f16 v35, v13, v17
	v_pk_fma_f16 v13, v26, s3, v14 op_sel:[0,0,1] op_sel_hi:[1,0,0]
	v_pk_fma_f16 v14, v26, s3, v14 op_sel:[0,0,1] op_sel_hi:[1,0,0] neg_lo:[0,0,1] neg_hi:[0,0,1]
	s_mov_b32 s0, 0xffff
	v_fma_f16 v46, v19, s20, v30
	v_pk_add_f16 v30, v16, v15
	v_pk_mul_f16 v16, v29, s17 op_sel_hi:[1,0]
	v_bfi_b32 v17, s0, v13, v14
	v_pk_fma_f16 v15, v30, s1, v16 op_sel:[0,0,1] op_sel_hi:[1,0,0]
	v_pk_fma_f16 v16, v30, s1, v16 op_sel:[0,0,1] op_sel_hi:[1,0,0] neg_lo:[0,0,1] neg_hi:[0,0,1]
	v_pk_add_f16 v17, v12, v17
	v_bfi_b32 v49, s0, v15, v16
	v_pk_add_f16 v49, v49, v17
	v_mul_f16_sdwa v17, v29, s6 dst_sel:DWORD dst_unused:UNUSED_PAD src0_sel:WORD_1 src1_sel:DWORD
	v_fma_f16 v18, v26, s1, -v18
	v_fma_f16 v50, v30, s7, v17
	v_add_f16_e32 v18, v12, v18
	v_add_f16_e32 v50, v50, v31
	v_mul_f16_sdwa v31, v30, s7 dst_sel:DWORD dst_unused:UNUSED_PAD src0_sel:WORD_1 src1_sel:DWORD
	v_fma_f16 v17, v30, s7, -v17
	v_add_f16_e32 v52, v17, v18
	v_fma_f16 v17, v29, s6, v31
	s_mov_b32 s14, 0xb3a8
	v_add_f16_e32 v36, v17, v36
	v_mul_f16_sdwa v17, v29, s14 dst_sel:DWORD dst_unused:UNUSED_PAD src0_sel:WORD_1 src1_sel:DWORD
	s_mov_b32 s15, 0xbbc4
	v_fma_f16 v18, v30, s15, v17
	v_add_f16_e32 v37, v18, v37
	v_mul_f16_sdwa v18, v30, s15 dst_sel:DWORD dst_unused:UNUSED_PAD src0_sel:WORD_1 src1_sel:DWORD
	v_fma_f16 v17, v30, s15, -v17
	v_add_f16_e32 v39, v17, v39
	v_fma_f16 v17, v29, s14, v18
	s_movk_i32 s22, 0x33a8
	v_add_f16_e32 v40, v17, v40
	v_mul_f16_sdwa v17, v29, s20 dst_sel:DWORD dst_unused:UNUSED_PAD src0_sel:WORD_1 src1_sel:DWORD
	v_fma_f16 v51, v29, s19, v31
	v_fma_f16 v31, v29, s22, v18
	;; [unrolled: 1-line block ×3, first 2 shown]
	v_add_f16_e32 v41, v18, v41
	v_mul_f16_sdwa v18, v30, s11 dst_sel:DWORD dst_unused:UNUSED_PAD src0_sel:WORD_1 src1_sel:DWORD
	v_fma_f16 v17, v30, s11, -v17
	v_add_f16_e32 v43, v17, v43
	v_fma_f16 v17, v29, s20, v18
	v_add_f16_sdwa v38, v12, v38 dst_sel:DWORD dst_unused:UNUSED_PAD src0_sel:WORD_1 src1_sel:DWORD
	v_add_f16_e32 v44, v17, v44
	v_mul_f16_sdwa v17, v29, s5 dst_sel:DWORD dst_unused:UNUSED_PAD src0_sel:WORD_1 src1_sel:DWORD
	v_add_f16_e32 v38, v31, v38
	v_fma_f16 v31, v29, s10, v18
	v_fma_f16 v18, v30, s4, v17
	v_add_f16_sdwa v42, v12, v42 dst_sel:DWORD dst_unused:UNUSED_PAD src0_sel:WORD_1 src1_sel:DWORD
	v_add_f16_e32 v45, v18, v45
	v_mul_f16_sdwa v18, v30, s4 dst_sel:DWORD dst_unused:UNUSED_PAD src0_sel:WORD_1 src1_sel:DWORD
	v_add_f16_sdwa v46, v12, v46 dst_sel:DWORD dst_unused:UNUSED_PAD src0_sel:WORD_1 src1_sel:DWORD
	v_add_f16_e32 v42, v31, v42
	v_fma_f16 v31, v29, s21, v18
	v_add_f16_e32 v46, v31, v46
	v_fma_f16 v17, v30, s4, -v17
	v_pk_add_f16 v31, v27, v34 neg_lo:[0,1] neg_hi:[0,1]
	v_add_f16_e32 v51, v51, v32
	v_add_f16_e32 v47, v17, v47
	v_fma_f16 v17, v29, s5, v18
	v_pk_add_f16 v32, v34, v27
	v_pk_mul_f16 v18, v31, s21 op_sel_hi:[1,0]
	v_add_f16_e32 v48, v17, v48
	v_pk_fma_f16 v17, v32, s4, v18 op_sel:[0,0,1] op_sel_hi:[1,0,0]
	v_pk_fma_f16 v18, v32, s4, v18 op_sel:[0,0,1] op_sel_hi:[1,0,0] neg_lo:[0,0,1] neg_hi:[0,0,1]
	v_bfi_b32 v27, s0, v17, v18
	v_pk_add_f16 v49, v27, v49
	v_mul_f16_sdwa v27, v31, s14 dst_sel:DWORD dst_unused:UNUSED_PAD src0_sel:WORD_1 src1_sel:DWORD
	v_fma_f16 v34, v32, s15, v27
	v_add_f16_e32 v50, v34, v50
	v_mul_f16_sdwa v34, v32, s15 dst_sel:DWORD dst_unused:UNUSED_PAD src0_sel:WORD_1 src1_sel:DWORD
	v_fma_f16 v27, v32, s15, -v27
	v_add_f16_e32 v52, v27, v52
	v_fma_f16 v27, v31, s14, v34
	v_add_f16_e32 v36, v27, v36
	v_mul_f16_sdwa v27, v31, s19 dst_sel:DWORD dst_unused:UNUSED_PAD src0_sel:WORD_1 src1_sel:DWORD
	v_fma_f16 v53, v31, s22, v34
	v_fma_f16 v34, v32, s7, v27
	v_add_f16_e32 v37, v34, v37
	v_mul_f16_sdwa v34, v32, s7 dst_sel:DWORD dst_unused:UNUSED_PAD src0_sel:WORD_1 src1_sel:DWORD
	v_fma_f16 v27, v32, s7, -v27
	v_add_f16_e32 v39, v27, v39
	v_fma_f16 v27, v31, s19, v34
	s_movk_i32 s16, 0x3770
	v_add_f16_e32 v40, v27, v40
	v_mul_f16_sdwa v27, v31, s16 dst_sel:DWORD dst_unused:UNUSED_PAD src0_sel:WORD_1 src1_sel:DWORD
	v_add_f16_e32 v51, v53, v51
	v_fma_f16 v53, v31, s6, v34
	v_fma_f16 v34, v32, s3, v27
	v_add_f16_e32 v41, v34, v41
	v_mul_f16_sdwa v34, v32, s3 dst_sel:DWORD dst_unused:UNUSED_PAD src0_sel:WORD_1 src1_sel:DWORD
	v_fma_f16 v27, v32, s3, -v27
	v_add_f16_e32 v43, v27, v43
	v_fma_f16 v27, v31, s16, v34
	v_add_f16_e32 v44, v27, v44
	v_mul_f16_sdwa v27, v31, s17 dst_sel:DWORD dst_unused:UNUSED_PAD src0_sel:WORD_1 src1_sel:DWORD
	v_add_f16_e32 v38, v53, v38
	v_fma_f16 v53, v31, s18, v34
	v_fma_f16 v34, v32, s1, v27
	v_add_f16_e32 v45, v34, v45
	v_mul_f16_sdwa v34, v32, s1 dst_sel:DWORD dst_unused:UNUSED_PAD src0_sel:WORD_1 src1_sel:DWORD
	v_fma_f16 v27, v32, s1, -v27
	v_add_f16_e32 v42, v53, v42
	v_fma_f16 v53, v31, s2, v34
	v_add_f16_e32 v47, v27, v47
	v_fma_f16 v27, v31, s17, v34
	v_pk_add_f16 v34, v33, v28
	v_pk_add_f16 v33, v28, v33 neg_lo:[0,1] neg_hi:[0,1]
	v_pk_mul_f16 v28, v33, s6 op_sel_hi:[1,0]
	v_add_f16_e32 v48, v27, v48
	v_pk_fma_f16 v27, v34, s7, v28 op_sel:[0,0,1] op_sel_hi:[1,0,0]
	v_pk_fma_f16 v28, v34, s7, v28 op_sel:[0,0,1] op_sel_hi:[1,0,0] neg_lo:[0,0,1] neg_hi:[0,0,1]
	v_add_f16_e32 v46, v53, v46
	v_bfi_b32 v53, s0, v27, v28
	v_pk_add_f16 v49, v53, v49
	v_mul_f16_sdwa v53, v33, s20 dst_sel:DWORD dst_unused:UNUSED_PAD src0_sel:WORD_1 src1_sel:DWORD
	v_fma_f16 v54, v34, s11, v53
	v_add_f16_e32 v50, v54, v50
	v_mul_f16_sdwa v54, v34, s11 dst_sel:DWORD dst_unused:UNUSED_PAD src0_sel:WORD_1 src1_sel:DWORD
	v_fma_f16 v53, v34, s11, -v53
	v_add_f16_e32 v52, v53, v52
	v_fma_f16 v53, v33, s20, v54
	v_add_f16_e32 v53, v53, v36
	v_mul_f16_sdwa v36, v33, s16 dst_sel:DWORD dst_unused:UNUSED_PAD src0_sel:WORD_1 src1_sel:DWORD
	v_fma_f16 v55, v33, s10, v54
	v_fma_f16 v54, v34, s3, v36
	v_add_f16_e32 v54, v54, v37
	v_mul_f16_sdwa v37, v34, s3 dst_sel:DWORD dst_unused:UNUSED_PAD src0_sel:WORD_1 src1_sel:DWORD
	v_fma_f16 v36, v34, s3, -v36
	v_add_f16_e32 v39, v36, v39
	v_fma_f16 v36, v33, s16, v37
	v_add_f16_e32 v40, v36, v40
	v_mul_f16_sdwa v36, v33, s21 dst_sel:DWORD dst_unused:UNUSED_PAD src0_sel:WORD_1 src1_sel:DWORD
	v_add_f16_e32 v51, v55, v51
	v_fma_f16 v55, v33, s18, v37
	v_fma_f16 v37, v34, s4, v36
	v_add_f16_e32 v41, v37, v41
	v_mul_f16_sdwa v37, v34, s4 dst_sel:DWORD dst_unused:UNUSED_PAD src0_sel:WORD_1 src1_sel:DWORD
	v_fma_f16 v36, v34, s4, -v36
	v_add_f16_e32 v43, v36, v43
	v_fma_f16 v36, v33, s21, v37
	v_add_f16_e32 v44, v36, v44
	v_mul_f16_sdwa v36, v33, s22 dst_sel:DWORD dst_unused:UNUSED_PAD src0_sel:WORD_1 src1_sel:DWORD
	v_add_f16_e32 v38, v55, v38
	v_fma_f16 v55, v33, s5, v37
	v_fma_f16 v37, v34, s15, v36
	v_add_f16_e32 v45, v37, v45
	v_mul_f16_sdwa v37, v34, s15 dst_sel:DWORD dst_unused:UNUSED_PAD src0_sel:WORD_1 src1_sel:DWORD
	v_fma_f16 v36, v34, s15, -v36
	v_add_f16_e32 v47, v36, v47
	v_fma_f16 v36, v33, s22, v37
	v_add_f16_e32 v48, v36, v48
	v_pk_add_f16 v36, v6, v9 neg_lo:[0,1] neg_hi:[0,1]
	v_add_f16_e32 v42, v55, v42
	v_fma_f16 v55, v33, s14, v37
	v_pk_add_f16 v37, v9, v6
	v_pk_mul_f16 v9, v36, s10 op_sel_hi:[1,0]
	v_pk_fma_f16 v6, v37, s11, v9 op_sel:[0,0,1] op_sel_hi:[1,0,0]
	v_pk_fma_f16 v9, v37, s11, v9 op_sel:[0,0,1] op_sel_hi:[1,0,0] neg_lo:[0,0,1] neg_hi:[0,0,1]
	v_add_f16_e32 v46, v55, v46
	v_bfi_b32 v55, s0, v6, v9
	v_pk_add_f16 v49, v55, v49
	v_mul_f16_sdwa v55, v36, s5 dst_sel:DWORD dst_unused:UNUSED_PAD src0_sel:WORD_1 src1_sel:DWORD
	v_fma_f16 v56, v37, s4, v55
	v_add_f16_e32 v50, v56, v50
	v_mul_f16_sdwa v56, v37, s4 dst_sel:DWORD dst_unused:UNUSED_PAD src0_sel:WORD_1 src1_sel:DWORD
	v_fma_f16 v55, v37, s4, -v55
	v_add_f16_e32 v52, v55, v52
	v_fma_f16 v55, v36, s5, v56
	v_add_f16_e32 v53, v55, v53
	v_mul_f16_sdwa v55, v36, s17 dst_sel:DWORD dst_unused:UNUSED_PAD src0_sel:WORD_1 src1_sel:DWORD
	v_fma_f16 v57, v36, s21, v56
	v_fma_f16 v56, v37, s1, v55
	v_add_f16_e32 v54, v56, v54
	v_mul_f16_sdwa v56, v37, s1 dst_sel:DWORD dst_unused:UNUSED_PAD src0_sel:WORD_1 src1_sel:DWORD
	v_add_f16_e32 v51, v57, v51
	v_fma_f16 v57, v36, s2, v56
	v_add_f16_e32 v57, v57, v38
	v_fma_f16 v38, v37, s1, -v55
	v_add_f16_e32 v55, v38, v39
	v_fma_f16 v38, v36, s17, v56
	v_add_f16_e32 v56, v38, v40
	v_mul_f16_sdwa v38, v36, s22 dst_sel:DWORD dst_unused:UNUSED_PAD src0_sel:WORD_1 src1_sel:DWORD
	v_fma_f16 v39, v37, s15, v38
	v_add_f16_e32 v58, v39, v41
	v_mul_f16_sdwa v39, v37, s15 dst_sel:DWORD dst_unused:UNUSED_PAD src0_sel:WORD_1 src1_sel:DWORD
	v_fma_f16 v38, v37, s15, -v38
	v_add_f16_e32 v43, v38, v43
	v_fma_f16 v38, v36, s22, v39
	v_add_f16_e32 v44, v38, v44
	v_mul_f16_sdwa v38, v36, s16 dst_sel:DWORD dst_unused:UNUSED_PAD src0_sel:WORD_1 src1_sel:DWORD
	v_fma_f16 v40, v36, s14, v39
	v_fma_f16 v39, v37, s3, v38
	v_add_f16_e32 v45, v39, v45
	v_mul_f16_sdwa v39, v37, s3 dst_sel:DWORD dst_unused:UNUSED_PAD src0_sel:WORD_1 src1_sel:DWORD
	v_fma_f16 v38, v37, s3, -v38
	v_add_f16_e32 v59, v38, v47
	v_fma_f16 v38, v36, s16, v39
	v_pk_add_f16 v47, v7, v8 neg_lo:[0,1] neg_hi:[0,1]
	v_add_f16_e32 v60, v38, v48
	v_pk_add_f16 v48, v8, v7
	v_pk_mul_f16 v8, v47, s14 op_sel_hi:[1,0]
	v_pk_fma_f16 v7, v48, s15, v8 op_sel:[0,0,1] op_sel_hi:[1,0,0]
	v_pk_fma_f16 v8, v48, s15, v8 op_sel:[0,0,1] op_sel_hi:[1,0,0] neg_lo:[0,0,1] neg_hi:[0,0,1]
	v_bfi_b32 v38, s0, v7, v8
	v_pk_add_f16 v49, v38, v49
	v_mul_f16_sdwa v38, v47, s16 dst_sel:DWORD dst_unused:UNUSED_PAD src0_sel:WORD_1 src1_sel:DWORD
	v_add_f16_e32 v42, v40, v42
	v_fma_f16 v40, v36, s18, v39
	v_fma_f16 v39, v48, s3, v38
	v_add_f16_e32 v50, v39, v50
	v_mul_f16_sdwa v39, v48, s3 dst_sel:DWORD dst_unused:UNUSED_PAD src0_sel:WORD_1 src1_sel:DWORD
	v_add_f16_e32 v46, v40, v46
	v_fma_f16 v40, v47, s18, v39
	v_add_f16_e32 v51, v40, v51
	v_mul_f16_sdwa v40, v47, s10 dst_sel:DWORD dst_unused:UNUSED_PAD src0_sel:WORD_1 src1_sel:DWORD
	v_fma_f16 v38, v48, s3, -v38
	v_fma_f16 v41, v48, s11, v40
	v_add_f16_e32 v38, v38, v52
	v_fma_f16 v39, v47, s16, v39
	v_add_f16_e32 v52, v41, v54
	v_mul_f16_sdwa v41, v48, s11 dst_sel:DWORD dst_unused:UNUSED_PAD src0_sel:WORD_1 src1_sel:DWORD
	v_add_f16_e32 v39, v39, v53
	v_fma_f16 v53, v47, s20, v41
	v_fma_f16 v41, v47, s10, v41
	v_add_f16_e32 v41, v41, v56
	v_mul_f16_sdwa v56, v48, s1 dst_sel:DWORD dst_unused:UNUSED_PAD src0_sel:WORD_1 src1_sel:DWORD
	v_add_f16_e32 v53, v53, v57
	v_mul_f16_sdwa v54, v47, s2 dst_sel:DWORD dst_unused:UNUSED_PAD src0_sel:WORD_1 src1_sel:DWORD
	v_fma_f16 v57, v47, s17, v56
	v_add_f16_e32 v57, v57, v42
	v_fma_f16 v42, v48, s1, -v54
	v_add_f16_e32 v43, v42, v43
	v_fma_f16 v42, v47, s2, v56
	v_fma_f16 v40, v48, s11, -v40
	v_add_f16_e32 v44, v42, v44
	v_mul_f16_sdwa v42, v47, s6 dst_sel:DWORD dst_unused:UNUSED_PAD src0_sel:WORD_1 src1_sel:DWORD
	v_add_f16_e32 v40, v40, v55
	v_fma_f16 v55, v48, s1, v54
	v_fma_f16 v54, v48, s7, v42
	v_mul_f16_sdwa v56, v48, s7 dst_sel:DWORD dst_unused:UNUSED_PAD src0_sel:WORD_1 src1_sel:DWORD
	v_add_f16_e32 v54, v54, v45
	v_fma_f16 v45, v47, s19, v56
	v_fma_f16 v42, v48, s7, -v42
	v_add_f16_e32 v55, v55, v58
	v_add_f16_e32 v58, v45, v46
	;; [unrolled: 1-line block ×3, first 2 shown]
	v_mad_u32_u24 v42, v0, 48, v1
	s_barrier
	ds_write2_b32 v42, v35, v49 offset1:1
	v_pack_b32_f16 v35, v52, v53
	v_pack_b32_f16 v49, v50, v51
	ds_write2_b32 v42, v49, v35 offset0:2 offset1:3
	v_pack_b32_f16 v35, v54, v58
	v_pack_b32_f16 v49, v55, v57
	v_pk_mul_f16 v26, v26, s15 op_sel_hi:[1,0]
	ds_write2_b32 v42, v49, v35 offset0:4 offset1:5
	v_pk_fma_f16 v35, v19, s14, v26 op_sel:[0,0,1] op_sel_hi:[1,0,0]
	v_pk_fma_f16 v19, v19, s14, v26 op_sel:[0,0,1] op_sel_hi:[1,0,0] neg_lo:[1,0,0] neg_hi:[1,0,0]
	v_alignbit_b32 v26, s0, v12, 16
	v_pk_mul_f16 v30, v30, s3 op_sel_hi:[1,0]
	v_alignbit_b32 v49, s0, v35, 16
	v_pk_add_f16 v19, v12, v19 op_sel:[1,0] op_sel_hi:[0,1]
	v_pk_add_f16 v26, v26, v35
	v_pk_fma_f16 v35, v29, s16, v30 op_sel:[0,0,1] op_sel_hi:[1,0,0]
	v_pk_fma_f16 v29, v29, s16, v30 op_sel:[0,0,1] op_sel_hi:[1,0,0] neg_lo:[1,0,0] neg_hi:[1,0,0]
	v_pk_add_f16 v19, v29, v19
	v_pk_mul_f16 v29, v32, s11 op_sel_hi:[1,0]
	v_pk_fma_f16 v30, v31, s10, v29 op_sel:[0,0,1] op_sel_hi:[1,0,0]
	v_pk_fma_f16 v29, v31, s10, v29 op_sel:[0,0,1] op_sel_hi:[1,0,0] neg_lo:[1,0,0] neg_hi:[1,0,0]
	v_pk_add_f16 v26, v35, v26
	v_pk_add_f16 v19, v29, v19
	v_pk_mul_f16 v29, v34, s1 op_sel_hi:[1,0]
	v_alignbit_b32 v32, s0, v30, 16
	v_pk_add_f16 v26, v30, v26
	v_pk_fma_f16 v30, v33, s2, v29 op_sel:[0,0,1] op_sel_hi:[1,0,0]
	v_pk_fma_f16 v29, v33, s2, v29 op_sel:[0,0,1] op_sel_hi:[1,0,0] neg_lo:[1,0,0] neg_hi:[1,0,0]
	v_pk_add_f16 v49, v12, v49
	v_alignbit_b32 v50, s0, v35, 16
	v_pk_add_f16 v19, v29, v19
	v_pk_mul_f16 v29, v37, s7 op_sel_hi:[1,0]
	v_pk_add_f16 v49, v50, v49
	v_alignbit_b32 v31, s0, v30, 16
	v_pk_add_f16 v26, v30, v26
	v_pk_fma_f16 v30, v36, s6, v29 op_sel:[0,0,1] op_sel_hi:[1,0,0]
	v_pk_fma_f16 v29, v36, s6, v29 op_sel:[0,0,1] op_sel_hi:[1,0,0] neg_lo:[1,0,0] neg_hi:[1,0,0]
	v_pk_add_f16 v32, v32, v49
	v_pk_add_f16 v19, v29, v19
	v_pk_mul_f16 v29, v48, s4 op_sel_hi:[1,0]
	v_bfi_b32 v13, s0, v14, v13
	v_pk_add_f16 v31, v31, v32
	v_alignbit_b32 v32, s0, v30, 16
	v_pk_add_f16 v26, v30, v26
	v_pk_fma_f16 v30, v47, s5, v29 op_sel:[0,0,1] op_sel_hi:[1,0,0]
	v_pk_add_f16 v12, v12, v13
	v_bfi_b32 v13, s0, v16, v15
	v_pk_add_f16 v31, v32, v31
	v_alignbit_b32 v32, s0, v30, 16
	v_pk_fma_f16 v29, v47, s5, v29 op_sel:[0,0,1] op_sel_hi:[1,0,0] neg_lo:[1,0,0] neg_hi:[1,0,0]
	v_pk_add_f16 v12, v13, v12
	v_bfi_b32 v13, s0, v18, v17
	v_fma_f16 v46, v47, s6, v56
	v_pk_add_f16 v31, v32, v31
	v_pk_add_f16 v19, v29, v19
	;; [unrolled: 1-line block ×4, first 2 shown]
	v_bfi_b32 v13, s0, v28, v27
	v_add_f16_e32 v46, v46, v60
	v_alignbit_b32 v26, v26, v19, 16
	v_pack_b32_f16 v19, v31, v19
	v_pk_add_f16 v12, v13, v12
	v_bfi_b32 v6, s0, v9, v6
	ds_write2_b32 v42, v19, v26 offset0:6 offset1:7
	v_pack_b32_f16 v19, v43, v44
	v_pack_b32_f16 v26, v45, v46
	v_pk_add_f16 v6, v6, v12
	v_bfi_b32 v7, s0, v8, v7
	ds_write2_b32 v42, v26, v19 offset0:8 offset1:9
	v_pack_b32_f16 v19, v38, v39
	v_pack_b32_f16 v26, v40, v41
	v_pk_add_f16 v28, v7, v6
	v_add_u32_e32 v6, 0x600, v1
	ds_write2_b32 v42, v26, v19 offset0:10 offset1:11
	ds_write_b32 v42, v28 offset:48
	s_waitcnt lgkmcnt(0)
	s_barrier
	ds_read2_b32 v[14:15], v1 offset0:169 offset1:247
	ds_read2_b32 v[12:13], v24 offset0:82 offset1:160
	;; [unrolled: 1-line block ×5, first 2 shown]
	v_lshl_add_u32 v26, v5, 2, v21
	ds_read_b32 v37, v20
	ds_read_b32 v36, v26
	v_cmp_gt_u32_e64 s[0:1], 13, v0
	v_lshrrev_b32_e32 v29, 16, v28
	v_lshlrev_b32_e32 v27, 2, v4
                                        ; implicit-def: $vgpr31
                                        ; implicit-def: $vgpr30
                                        ; implicit-def: $vgpr34
                                        ; implicit-def: $vgpr9
                                        ; implicit-def: $vgpr32
                                        ; implicit-def: $vgpr35
                                        ; implicit-def: $vgpr7
                                        ; implicit-def: $vgpr33
	s_and_saveexec_b64 s[2:3], s[0:1]
	s_cbranch_execz .LBB0_15
; %bb.14:
	v_add3_u32 v8, 0, v27, v23
	ds_read2_b32 v[6:7], v24 offset0:69 offset1:238
	ds_read_b32 v28, v8
	ds_read2_b32 v[8:9], v25 offset0:23 offset1:192
	ds_read_b32 v30, v1 offset:4004
	s_waitcnt lgkmcnt(3)
	v_lshrrev_b32_e32 v33, 16, v6
	s_waitcnt lgkmcnt(2)
	v_lshrrev_b32_e32 v29, 16, v28
	v_lshrrev_b32_e32 v35, 16, v7
	s_waitcnt lgkmcnt(1)
	v_lshrrev_b32_e32 v32, 16, v8
	;; [unrolled: 3-line block ×3, first 2 shown]
.LBB0_15:
	s_or_b64 exec, exec, s[2:3]
	s_movk_i32 s4, 0x4f
	v_mul_lo_u16_sdwa v24, v0, s4 dst_sel:DWORD dst_unused:UNUSED_PAD src0_sel:BYTE_0 src1_sel:DWORD
	v_lshrrev_b16_e32 v53, 10, v24
	v_mul_lo_u16_e32 v24, 13, v53
	v_sub_u16_e32 v54, v0, v24
	v_mov_b32_e32 v24, 5
	v_mul_u32_u24_sdwa v38, v54, v24 dst_sel:DWORD dst_unused:UNUSED_PAD src0_sel:BYTE_0 src1_sel:DWORD
	v_lshlrev_b32_e32 v55, 2, v38
	global_load_dwordx4 v[38:41], v55, s[8:9]
	s_waitcnt lgkmcnt(6)
	v_lshrrev_b32_e32 v45, 16, v14
	s_waitcnt lgkmcnt(5)
	v_lshrrev_b32_e32 v46, 16, v12
	;; [unrolled: 2-line block ×5, first 2 shown]
	v_lshrrev_b32_e32 v50, 16, v15
	v_lshrrev_b32_e32 v51, 16, v13
	;; [unrolled: 1-line block ×5, first 2 shown]
	s_waitcnt lgkmcnt(1)
	v_lshrrev_b32_e32 v25, 16, v37
	s_mov_b32 s6, 0xbaee
	s_movk_i32 s5, 0x3aee
	s_waitcnt lgkmcnt(0)
	v_lshrrev_b32_e32 v42, 16, v36
	s_movk_i32 s2, 0x138
	s_waitcnt vmcnt(0)
	v_mul_f16_sdwa v56, v38, v45 dst_sel:DWORD dst_unused:UNUSED_PAD src0_sel:WORD_1 src1_sel:DWORD
	v_fma_f16 v56, v38, v14, v56
	v_mul_f16_sdwa v14, v38, v14 dst_sel:DWORD dst_unused:UNUSED_PAD src0_sel:WORD_1 src1_sel:DWORD
	v_fma_f16 v14, v38, v45, -v14
	v_mul_f16_sdwa v38, v39, v46 dst_sel:DWORD dst_unused:UNUSED_PAD src0_sel:WORD_1 src1_sel:DWORD
	v_fma_f16 v45, v39, v12, v38
	v_mul_f16_sdwa v12, v39, v12 dst_sel:DWORD dst_unused:UNUSED_PAD src0_sel:WORD_1 src1_sel:DWORD
	v_mul_f16_sdwa v38, v40, v47 dst_sel:DWORD dst_unused:UNUSED_PAD src0_sel:WORD_1 src1_sel:DWORD
	v_fma_f16 v12, v39, v46, -v12
	v_fma_f16 v46, v40, v18, v38
	v_mul_f16_sdwa v18, v40, v18 dst_sel:DWORD dst_unused:UNUSED_PAD src0_sel:WORD_1 src1_sel:DWORD
	v_mul_f16_sdwa v38, v41, v48 dst_sel:DWORD dst_unused:UNUSED_PAD src0_sel:WORD_1 src1_sel:DWORD
	v_fma_f16 v18, v40, v47, -v18
	v_fma_f16 v47, v41, v16, v38
	global_load_dword v38, v55, s[8:9] offset:16
	v_mul_f16_sdwa v16, v41, v16 dst_sel:DWORD dst_unused:UNUSED_PAD src0_sel:WORD_1 src1_sel:DWORD
	v_fma_f16 v16, v41, v48, -v16
	s_waitcnt vmcnt(0)
	v_mul_f16_sdwa v39, v38, v49 dst_sel:DWORD dst_unused:UNUSED_PAD src0_sel:WORD_1 src1_sel:DWORD
	v_fma_f16 v48, v38, v10, v39
	v_mul_f16_sdwa v10, v38, v10 dst_sel:DWORD dst_unused:UNUSED_PAD src0_sel:WORD_1 src1_sel:DWORD
	v_fma_f16 v10, v38, v49, -v10
	v_mul_lo_u16_sdwa v38, v5, s4 dst_sel:DWORD dst_unused:UNUSED_PAD src0_sel:BYTE_0 src1_sel:DWORD
	v_lshrrev_b16_e32 v49, 10, v38
	v_mul_lo_u16_e32 v38, 13, v49
	v_sub_u16_e32 v55, v5, v38
	v_mul_u32_u24_sdwa v38, v55, v24 dst_sel:DWORD dst_unused:UNUSED_PAD src0_sel:BYTE_0 src1_sel:DWORD
	v_lshlrev_b32_e32 v57, 2, v38
	global_load_dwordx4 v[38:41], v57, s[8:9]
	s_waitcnt vmcnt(0)
	v_mul_f16_sdwa v58, v38, v50 dst_sel:DWORD dst_unused:UNUSED_PAD src0_sel:WORD_1 src1_sel:DWORD
	v_fma_f16 v58, v38, v15, v58
	v_mul_f16_sdwa v15, v38, v15 dst_sel:DWORD dst_unused:UNUSED_PAD src0_sel:WORD_1 src1_sel:DWORD
	v_fma_f16 v15, v38, v50, -v15
	v_mul_f16_sdwa v38, v39, v51 dst_sel:DWORD dst_unused:UNUSED_PAD src0_sel:WORD_1 src1_sel:DWORD
	v_fma_f16 v38, v39, v13, v38
	v_mul_f16_sdwa v13, v39, v13 dst_sel:DWORD dst_unused:UNUSED_PAD src0_sel:WORD_1 src1_sel:DWORD
	v_fma_f16 v13, v39, v51, -v13
	;; [unrolled: 4-line block ×3, first 2 shown]
	v_mul_f16_sdwa v40, v43, v41 dst_sel:DWORD dst_unused:UNUSED_PAD src0_sel:DWORD src1_sel:WORD_1
	v_fma_f16 v40, v17, v41, v40
	v_mul_f16_sdwa v17, v17, v41 dst_sel:DWORD dst_unused:UNUSED_PAD src0_sel:DWORD src1_sel:WORD_1
	v_fma_f16 v17, v43, v41, -v17
	global_load_dword v41, v57, s[8:9] offset:16
	s_waitcnt vmcnt(0)
	s_barrier
	v_mul_f16_sdwa v43, v44, v41 dst_sel:DWORD dst_unused:UNUSED_PAD src0_sel:DWORD src1_sel:WORD_1
	v_fma_f16 v43, v11, v41, v43
	v_mul_f16_sdwa v11, v11, v41 dst_sel:DWORD dst_unused:UNUSED_PAD src0_sel:DWORD src1_sel:WORD_1
	v_fma_f16 v11, v44, v41, -v11
	v_add_f16_e32 v44, v45, v47
	v_add_f16_e32 v41, v37, v45
	v_fma_f16 v37, v44, -0.5, v37
	v_sub_f16_e32 v44, v12, v16
	v_fma_f16 v50, v44, s6, v37
	v_fma_f16 v37, v44, s5, v37
	v_add_f16_e32 v44, v25, v12
	v_add_f16_e32 v44, v44, v16
	;; [unrolled: 1-line block ×3, first 2 shown]
	v_sub_f16_e32 v16, v45, v47
	v_add_f16_e32 v45, v46, v48
	v_add_f16_e32 v41, v41, v47
	v_fma_f16 v45, v45, -0.5, v56
	v_sub_f16_e32 v47, v18, v10
	v_fma_f16 v51, v47, s6, v45
	v_fma_f16 v45, v47, s5, v45
	v_add_f16_e32 v47, v14, v18
	v_add_f16_e32 v47, v47, v10
	;; [unrolled: 1-line block ×3, first 2 shown]
	v_fma_f16 v10, v10, -0.5, v14
	v_sub_f16_e32 v14, v46, v48
	v_fma_f16 v12, v12, -0.5, v25
	v_fma_f16 v18, v14, s5, v10
	v_fma_f16 v25, v16, s5, v12
	;; [unrolled: 1-line block ×3, first 2 shown]
	v_add_f16_e32 v16, v56, v46
	v_fma_f16 v10, v14, s6, v10
	v_mul_f16_e32 v46, 0xbaee, v18
	v_mul_f16_e32 v18, 0.5, v18
	v_mul_f16_e32 v52, 0xbaee, v10
	v_fma_f16 v18, v51, s5, v18
	v_mul_f16_e32 v10, -0.5, v10
	v_fma_f16 v46, v51, 0.5, v46
	v_add_f16_e32 v51, v25, v18
	v_fma_f16 v10, v45, s5, v10
	v_sub_f16_e32 v18, v25, v18
	v_add_f16_e32 v25, v38, v40
	v_add_f16_e32 v16, v16, v48
	v_fma_f16 v52, v45, -0.5, v52
	v_add_f16_e32 v45, v12, v10
	v_sub_f16_e32 v12, v12, v10
	v_add_f16_e32 v10, v36, v38
	v_fma_f16 v25, v25, -0.5, v36
	v_sub_f16_e32 v36, v13, v17
	v_add_f16_e32 v14, v41, v16
	v_add_f16_e32 v48, v50, v46
	v_sub_f16_e32 v16, v41, v16
	v_sub_f16_e32 v41, v50, v46
	v_fma_f16 v46, v36, s6, v25
	v_fma_f16 v25, v36, s5, v25
	v_add_f16_e32 v36, v42, v13
	v_add_f16_e32 v10, v10, v40
	v_add_f16_e32 v36, v36, v17
	v_add_f16_e32 v13, v13, v17
	v_sub_f16_e32 v17, v38, v40
	v_add_f16_e32 v40, v39, v43
	v_fma_f16 v13, v13, -0.5, v42
	v_fma_f16 v40, v40, -0.5, v58
	v_sub_f16_e32 v42, v19, v11
	v_add_f16_e32 v57, v44, v47
	v_sub_f16_e32 v44, v44, v47
	v_fma_f16 v47, v42, s6, v40
	v_fma_f16 v40, v42, s5, v40
	v_add_f16_e32 v42, v15, v19
	v_add_f16_e32 v42, v42, v11
	;; [unrolled: 1-line block ×3, first 2 shown]
	v_fma_f16 v11, v11, -0.5, v15
	v_sub_f16_e32 v15, v39, v43
	v_fma_f16 v38, v17, s5, v13
	v_fma_f16 v13, v17, s6, v13
	v_add_f16_e32 v17, v58, v39
	v_fma_f16 v19, v15, s5, v11
	v_fma_f16 v11, v15, s6, v11
	v_add_f16_e32 v17, v17, v43
	v_mul_f16_e32 v39, 0xbaee, v19
	v_mul_f16_e32 v50, 0xbaee, v11
	v_mul_f16_e32 v19, 0.5, v19
	v_mul_f16_e32 v11, -0.5, v11
	v_add_f16_e32 v15, v10, v17
	v_fma_f16 v19, v47, s5, v19
	v_fma_f16 v11, v40, s5, v11
	v_sub_f16_e32 v17, v10, v17
	v_mov_b32_e32 v10, 2
	v_fma_f16 v39, v47, 0.5, v39
	v_fma_f16 v50, v40, -0.5, v50
	v_add_f16_e32 v47, v38, v19
	v_add_f16_e32 v40, v13, v11
	v_sub_f16_e32 v19, v38, v19
	v_sub_f16_e32 v11, v13, v11
	v_mad_u32_u24 v13, v53, s2, 0
	v_lshlrev_b32_sdwa v38, v10, v54 dst_sel:DWORD dst_unused:UNUSED_PAD src0_sel:DWORD src1_sel:BYTE_0
	v_add_f16_e32 v56, v37, v52
	v_add3_u32 v13, v13, v38, v23
	v_pack_b32_f16 v14, v14, v57
	v_pack_b32_f16 v38, v48, v51
	v_sub_f16_e32 v37, v37, v52
	ds_write2_b32 v13, v14, v38 offset1:13
	v_pack_b32_f16 v14, v56, v45
	v_pack_b32_f16 v16, v16, v44
	ds_write2_b32 v13, v14, v16 offset0:26 offset1:39
	v_pack_b32_f16 v14, v41, v18
	v_pack_b32_f16 v12, v37, v12
	v_add_f16_e32 v43, v46, v39
	v_add_f16_e32 v58, v36, v42
	ds_write2_b32 v13, v14, v12 offset0:52 offset1:65
	v_mad_u32_u24 v12, v49, s2, 0
	v_lshlrev_b32_sdwa v13, v10, v55 dst_sel:DWORD dst_unused:UNUSED_PAD src0_sel:DWORD src1_sel:BYTE_0
	v_add_f16_e32 v52, v25, v50
	v_sub_f16_e32 v36, v36, v42
	v_add3_u32 v12, v12, v13, v23
	v_pack_b32_f16 v13, v15, v58
	v_pack_b32_f16 v14, v43, v47
	v_sub_f16_e32 v39, v46, v39
	v_sub_f16_e32 v25, v25, v50
	ds_write2_b32 v12, v13, v14 offset1:13
	v_pack_b32_f16 v13, v52, v40
	v_pack_b32_f16 v14, v17, v36
	ds_write2_b32 v12, v13, v14 offset0:26 offset1:39
	v_pack_b32_f16 v13, v39, v19
	v_pack_b32_f16 v11, v25, v11
	ds_write2_b32 v12, v13, v11 offset0:52 offset1:65
	s_and_saveexec_b64 s[2:3], s[0:1]
	s_cbranch_execz .LBB0_17
; %bb.16:
	v_mul_lo_u16_sdwa v11, v4, s4 dst_sel:DWORD dst_unused:UNUSED_PAD src0_sel:BYTE_0 src1_sel:DWORD
	v_lshrrev_b16_e32 v11, 10, v11
	v_mul_lo_u16_e32 v11, 13, v11
	v_sub_u16_e32 v15, v4, v11
	v_mul_u32_u24_sdwa v11, v15, v24 dst_sel:DWORD dst_unused:UNUSED_PAD src0_sel:BYTE_0 src1_sel:DWORD
	v_lshlrev_b32_e32 v16, 2, v11
	global_load_dwordx4 v[11:14], v16, s[8:9]
	global_load_dword v17, v16, s[8:9] offset:16
	v_lshlrev_b32_sdwa v10, v10, v15 dst_sel:DWORD dst_unused:UNUSED_PAD src0_sel:DWORD src1_sel:BYTE_0
	v_add3_u32 v10, 0, v10, v23
	v_add_u32_e32 v10, 0xc00, v10
	s_waitcnt vmcnt(1)
	v_mul_f16_sdwa v16, v9, v14 dst_sel:DWORD dst_unused:UNUSED_PAD src0_sel:DWORD src1_sel:WORD_1
	v_mul_f16_sdwa v19, v34, v14 dst_sel:DWORD dst_unused:UNUSED_PAD src0_sel:DWORD src1_sel:WORD_1
	;; [unrolled: 1-line block ×4, first 2 shown]
	s_waitcnt vmcnt(0)
	v_mul_f16_sdwa v38, v30, v17 dst_sel:DWORD dst_unused:UNUSED_PAD src0_sel:DWORD src1_sel:WORD_1
	v_mul_f16_sdwa v15, v7, v12 dst_sel:DWORD dst_unused:UNUSED_PAD src0_sel:DWORD src1_sel:WORD_1
	;; [unrolled: 1-line block ×6, first 2 shown]
	v_fma_f16 v16, v34, v14, -v16
	v_fma_f16 v9, v9, v14, v19
	v_fma_f16 v8, v8, v13, v25
	v_fma_f16 v13, v32, v13, -v37
	v_fma_f16 v14, v31, v17, -v38
	;; [unrolled: 1-line block ×3, first 2 shown]
	v_fma_f16 v7, v7, v12, v18
	v_fma_f16 v6, v6, v11, v24
	;; [unrolled: 1-line block ×3, first 2 shown]
	v_fma_f16 v11, v33, v11, -v39
	v_add_f16_e32 v25, v13, v14
	v_add_f16_e32 v17, v15, v16
	v_sub_f16_e32 v18, v7, v9
	v_add_f16_e32 v19, v8, v12
	v_sub_f16_e32 v24, v13, v14
	v_sub_f16_e32 v30, v8, v12
	v_add_f16_e32 v31, v29, v15
	v_add_f16_e32 v13, v11, v13
	v_add_f16_e32 v32, v7, v9
	v_add_f16_e32 v7, v28, v7
	v_add_f16_e32 v8, v6, v8
	v_fma_f16 v11, v25, -0.5, v11
	v_sub_f16_e32 v15, v15, v16
	v_fma_f16 v17, v17, -0.5, v29
	v_fma_f16 v6, v19, -0.5, v6
	v_add_f16_e32 v16, v31, v16
	v_add_f16_e32 v13, v13, v14
	v_fma_f16 v14, v32, -0.5, v28
	v_add_f16_e32 v7, v7, v9
	v_add_f16_e32 v8, v8, v12
	v_fma_f16 v19, v30, s6, v11
	v_fma_f16 v11, v30, s5, v11
	;; [unrolled: 1-line block ×6, first 2 shown]
	v_sub_f16_e32 v18, v16, v13
	v_fma_f16 v24, v15, s5, v14
	v_fma_f16 v14, v15, s6, v14
	v_sub_f16_e32 v15, v7, v8
	v_add_f16_e32 v13, v16, v13
	v_add_f16_e32 v7, v7, v8
	v_mul_f16_e32 v8, -0.5, v19
	v_mul_f16_e32 v16, 0.5, v11
	v_mul_f16_e32 v11, 0xbaee, v11
	v_mul_f16_e32 v19, 0xbaee, v19
	v_pack_b32_f16 v7, v7, v13
	v_pack_b32_f16 v13, v15, v18
	v_fma_f16 v8, v12, s5, v8
	v_fma_f16 v15, v6, s5, v16
	v_fma_f16 v6, v6, 0.5, v11
	v_fma_f16 v12, v12, -0.5, v19
	v_sub_f16_e32 v11, v9, v8
	v_sub_f16_e32 v19, v14, v6
	v_add_f16_e32 v8, v9, v8
	v_add_f16_e32 v9, v17, v15
	;; [unrolled: 1-line block ×3, first 2 shown]
	v_sub_f16_e32 v16, v17, v15
	v_sub_f16_e32 v18, v24, v12
	v_add_f16_e32 v12, v24, v12
	v_pack_b32_f16 v6, v6, v9
	v_pack_b32_f16 v8, v12, v8
	;; [unrolled: 1-line block ×4, first 2 shown]
	ds_write2_b32 v10, v7, v6 offset0:168 offset1:181
	ds_write2_b32 v10, v8, v13 offset0:194 offset1:207
	ds_write2_b32 v10, v9, v11 offset0:220 offset1:233
.LBB0_17:
	s_or_b64 exec, exec, s[2:3]
	v_mul_u32_u24_e32 v6, 12, v0
	v_lshlrev_b32_e32 v6, 2, v6
	s_waitcnt lgkmcnt(0)
	s_barrier
	global_load_dwordx4 v[9:12], v6, s[8:9] offset:260
	global_load_dwordx4 v[13:16], v6, s[8:9] offset:276
	;; [unrolled: 1-line block ×3, first 2 shown]
	v_add3_u32 v17, 0, v27, v23
	v_add_u32_e32 v18, 0x200, v1
	v_add_u32_e32 v8, 0x400, v1
	;; [unrolled: 1-line block ×5, first 2 shown]
	ds_read_b32 v25, v20
	ds_read_b32 v27, v26
	;; [unrolled: 1-line block ×3, first 2 shown]
	ds_read2_b32 v[17:18], v18 offset0:106 offset1:184
	ds_read2_b32 v[23:24], v8 offset0:134 offset1:212
	;; [unrolled: 1-line block ×5, first 2 shown]
	s_waitcnt lgkmcnt(6)
	v_lshrrev_b32_e32 v19, 16, v27
	s_waitcnt lgkmcnt(3)
	v_lshrrev_b32_e32 v39, 16, v23
	v_lshrrev_b32_e32 v47, 16, v38
	;; [unrolled: 1-line block ×3, first 2 shown]
	s_waitcnt lgkmcnt(1)
	v_lshrrev_b32_e32 v43, 16, v34
	v_lshrrev_b32_e32 v44, 16, v35
	s_waitcnt lgkmcnt(0)
	v_lshrrev_b32_e32 v45, 16, v36
	v_lshrrev_b32_e32 v46, 16, v37
	v_lshrrev_b32_e32 v48, 16, v17
	v_lshrrev_b32_e32 v40, 16, v24
	v_lshrrev_b32_e32 v41, 16, v32
	v_lshrrev_b32_e32 v42, 16, v33
	s_mov_b32 s6, 0xb770
	s_movk_i32 s7, 0x3b15
	s_movk_i32 s10, 0x3770
	s_mov_b32 s3, 0xba95
	s_movk_i32 s4, 0x388b
	s_movk_i32 s5, 0x3a95
	;; [unrolled: 3-line block ×3, first 2 shown]
	s_mov_b32 s11, 0xbb7b
	s_mov_b32 s14, 0xb5ac
	s_movk_i32 s15, 0x3b7b
	s_mov_b32 s16, 0xb94e
	s_mov_b32 s17, 0xb9fd
	s_movk_i32 s18, 0x394e
	;; [unrolled: 3-line block ×3, first 2 shown]
	s_waitcnt vmcnt(0)
	s_barrier
	v_mul_f16_sdwa v50, v9, v19 dst_sel:DWORD dst_unused:UNUSED_PAD src0_sel:WORD_1 src1_sel:DWORD
	v_mul_f16_sdwa v51, v9, v27 dst_sel:DWORD dst_unused:UNUSED_PAD src0_sel:WORD_1 src1_sel:DWORD
	;; [unrolled: 1-line block ×6, first 2 shown]
	v_mul_f16_sdwa v58, v39, v13 dst_sel:DWORD dst_unused:UNUSED_PAD src0_sel:DWORD src1_sel:WORD_1
	v_mul_f16_sdwa v59, v23, v13 dst_sel:DWORD dst_unused:UNUSED_PAD src0_sel:DWORD src1_sel:WORD_1
	v_fma_f16 v27, v9, v27, v50
	v_fma_f16 v9, v9, v19, -v51
	v_mul_f16_sdwa v54, v11, v48 dst_sel:DWORD dst_unused:UNUSED_PAD src0_sel:WORD_1 src1_sel:DWORD
	v_mul_f16_sdwa v55, v11, v17 dst_sel:DWORD dst_unused:UNUSED_PAD src0_sel:WORD_1 src1_sel:DWORD
	v_fma_f16 v18, v12, v18, v56
	v_mul_f16_sdwa v19, v43, v28 dst_sel:DWORD dst_unused:UNUSED_PAD src0_sel:DWORD src1_sel:WORD_1
	v_fma_f16 v38, v10, v38, v52
	v_fma_f16 v10, v10, v47, -v53
	v_mul_f16_sdwa v47, v44, v29 dst_sel:DWORD dst_unused:UNUSED_PAD src0_sel:DWORD src1_sel:WORD_1
	v_fma_f16 v12, v12, v49, -v57
	v_mul_f16_sdwa v49, v45, v30 dst_sel:DWORD dst_unused:UNUSED_PAD src0_sel:DWORD src1_sel:WORD_1
	v_mul_f16_sdwa v53, v46, v31 dst_sel:DWORD dst_unused:UNUSED_PAD src0_sel:DWORD src1_sel:WORD_1
	v_fma_f16 v23, v23, v13, v58
	v_fma_f16 v13, v39, v13, -v59
	v_add_f16_sdwa v39, v9, v25 dst_sel:DWORD dst_unused:UNUSED_PAD src0_sel:DWORD src1_sel:WORD_1
	v_fma_f16 v17, v11, v17, v54
	v_mul_f16_sdwa v51, v34, v28 dst_sel:DWORD dst_unused:UNUSED_PAD src0_sel:DWORD src1_sel:WORD_1
	v_fma_f16 v11, v11, v48, -v55
	v_mul_f16_sdwa v48, v35, v29 dst_sel:DWORD dst_unused:UNUSED_PAD src0_sel:DWORD src1_sel:WORD_1
	v_mul_f16_sdwa v52, v36, v30 dst_sel:DWORD dst_unused:UNUSED_PAD src0_sel:DWORD src1_sel:WORD_1
	;; [unrolled: 1-line block ×3, first 2 shown]
	v_fma_f16 v19, v34, v28, v19
	v_fma_f16 v34, v35, v29, v47
	;; [unrolled: 1-line block ×4, first 2 shown]
	v_add_f16_e32 v37, v27, v25
	v_add_f16_e32 v39, v39, v10
	;; [unrolled: 1-line block ×4, first 2 shown]
	v_mul_f16_sdwa v60, v40, v14 dst_sel:DWORD dst_unused:UNUSED_PAD src0_sel:DWORD src1_sel:WORD_1
	v_mul_f16_sdwa v61, v24, v14 dst_sel:DWORD dst_unused:UNUSED_PAD src0_sel:DWORD src1_sel:WORD_1
	v_add_f16_e32 v37, v37, v17
	v_add_f16_e32 v39, v39, v12
	v_mul_f16_sdwa v62, v41, v15 dst_sel:DWORD dst_unused:UNUSED_PAD src0_sel:DWORD src1_sel:WORD_1
	v_mul_f16_sdwa v54, v32, v15 dst_sel:DWORD dst_unused:UNUSED_PAD src0_sel:DWORD src1_sel:WORD_1
	v_fma_f16 v24, v24, v14, v60
	v_fma_f16 v14, v40, v14, -v61
	v_add_f16_e32 v37, v37, v18
	v_add_f16_e32 v39, v39, v13
	v_mul_f16_sdwa v56, v42, v16 dst_sel:DWORD dst_unused:UNUSED_PAD src0_sel:DWORD src1_sel:WORD_1
	v_mul_f16_sdwa v50, v33, v16 dst_sel:DWORD dst_unused:UNUSED_PAD src0_sel:DWORD src1_sel:WORD_1
	v_fma_f16 v32, v32, v15, v62
	v_fma_f16 v15, v41, v15, -v54
	v_add_f16_e32 v37, v37, v23
	v_add_f16_e32 v39, v39, v14
	v_fma_f16 v33, v33, v16, v56
	v_fma_f16 v16, v42, v16, -v50
	v_add_f16_e32 v37, v37, v24
	v_add_f16_e32 v39, v39, v15
	v_fma_f16 v28, v43, v28, -v51
	v_add_f16_e32 v37, v37, v32
	v_add_f16_e32 v39, v39, v16
	;; [unrolled: 3-line block ×3, first 2 shown]
	v_fma_f16 v30, v45, v30, -v52
	v_fma_f16 v31, v46, v31, -v55
	v_add_f16_e32 v37, v37, v19
	v_add_f16_e32 v39, v39, v29
	;; [unrolled: 1-line block ×5, first 2 shown]
	v_sub_f16_e32 v9, v9, v31
	v_add_f16_e32 v37, v37, v35
	v_add_f16_e32 v39, v39, v31
	;; [unrolled: 1-line block ×3, first 2 shown]
	v_sub_f16_e32 v27, v27, v36
	v_mul_f16_e32 v31, 0xb770, v9
	v_mul_f16_e32 v42, 0x3b15, v41
	;; [unrolled: 1-line block ×12, first 2 shown]
	v_add_f16_e32 v37, v37, v36
	v_fma_f16 v36, v40, s7, v31
	v_fma_f16 v43, v27, s10, v42
	v_fma_f16 v31, v40, s7, -v31
	v_fma_f16 v42, v27, s6, v42
	v_fma_f16 v45, v40, s4, v44
	v_fma_f16 v47, v27, s5, v46
	v_fma_f16 v44, v40, s4, -v44
	v_fma_f16 v46, v27, s3, v46
	v_fma_f16 v49, v40, s1, v48
	v_fma_f16 v51, v27, s2, v50
	v_fma_f16 v48, v40, s1, -v48
	v_fma_f16 v50, v27, s0, v50
	v_fma_f16 v53, v40, s14, v52
	v_fma_f16 v55, v27, s15, v54
	v_fma_f16 v52, v40, s14, -v52
	v_fma_f16 v54, v27, s11, v54
	v_fma_f16 v57, v40, s17, v56
	v_fma_f16 v59, v27, s18, v58
	v_fma_f16 v56, v40, s17, -v56
	v_fma_f16 v58, v27, s16, v58
	v_fma_f16 v60, v40, s20, v9
	v_fma_f16 v61, v27, s21, v41
	v_fma_f16 v9, v40, s20, -v9
	v_fma_f16 v27, v27, s19, v41
	v_add_f16_e32 v40, v10, v30
	v_sub_f16_e32 v10, v10, v30
	v_add_f16_e32 v36, v36, v25
	v_add_f16_sdwa v43, v43, v25 dst_sel:DWORD dst_unused:UNUSED_PAD src0_sel:DWORD src1_sel:WORD_1
	v_add_f16_e32 v31, v31, v25
	v_add_f16_sdwa v42, v42, v25 dst_sel:DWORD dst_unused:UNUSED_PAD src0_sel:DWORD src1_sel:WORD_1
	;; [unrolled: 2-line block ×12, first 2 shown]
	v_add_f16_e32 v27, v38, v35
	v_mul_f16_e32 v30, 0xba95, v10
	v_sub_f16_e32 v35, v38, v35
	v_fma_f16 v38, v27, s4, v30
	v_add_f16_e32 v36, v38, v36
	v_mul_f16_e32 v38, 0x388b, v40
	v_fma_f16 v30, v27, s4, -v30
	v_fma_f16 v41, v35, s5, v38
	v_add_f16_e32 v30, v30, v31
	v_fma_f16 v31, v35, s3, v38
	v_mul_f16_e32 v38, 0xbb7b, v10
	v_add_f16_e32 v41, v41, v43
	v_add_f16_e32 v31, v31, v42
	v_fma_f16 v42, v27, s14, v38
	v_mul_f16_e32 v43, 0xb5ac, v40
	v_fma_f16 v38, v27, s14, -v38
	v_add_f16_e32 v42, v42, v45
	v_fma_f16 v45, v35, s15, v43
	v_add_f16_e32 v38, v38, v44
	v_fma_f16 v43, v35, s11, v43
	v_mul_f16_e32 v44, 0xb3a8, v10
	v_add_f16_e32 v45, v45, v47
	v_add_f16_e32 v43, v43, v46
	v_fma_f16 v46, v27, s20, v44
	v_mul_f16_e32 v47, 0xbbc4, v40
	v_fma_f16 v44, v27, s20, -v44
	v_add_f16_e32 v46, v46, v49
	;; [unrolled: 10-line block ×3, first 2 shown]
	v_fma_f16 v53, v35, s16, v51
	v_add_f16_e32 v48, v48, v52
	v_fma_f16 v51, v35, s18, v51
	v_mul_f16_e32 v52, 0x3bf1, v10
	v_add_f16_e32 v51, v51, v54
	v_fma_f16 v54, v27, s1, v52
	v_fma_f16 v52, v27, s1, -v52
	v_mul_f16_e32 v10, 0x3770, v10
	v_add_f16_e32 v53, v53, v55
	v_mul_f16_e32 v55, 0x2fb7, v40
	v_add_f16_e32 v52, v52, v56
	v_fma_f16 v56, v27, s7, v10
	v_mul_f16_e32 v40, 0x3b15, v40
	v_fma_f16 v10, v27, s7, -v10
	v_add_f16_e32 v9, v10, v9
	v_fma_f16 v10, v35, s10, v40
	v_add_f16_e32 v27, v11, v29
	v_sub_f16_e32 v11, v11, v29
	v_add_f16_e32 v54, v54, v57
	v_fma_f16 v57, v35, s0, v55
	v_fma_f16 v55, v35, s2, v55
	v_add_f16_e32 v10, v10, v25
	v_add_f16_e32 v25, v17, v34
	v_mul_f16_e32 v29, 0xbbf1, v11
	v_add_f16_e32 v55, v55, v58
	v_fma_f16 v58, v35, s6, v40
	v_sub_f16_e32 v17, v17, v34
	v_fma_f16 v34, v25, s1, v29
	v_mul_f16_e32 v35, 0x2fb7, v27
	v_fma_f16 v29, v25, s1, -v29
	v_add_f16_e32 v29, v29, v30
	v_fma_f16 v30, v17, s0, v35
	v_add_f16_e32 v30, v30, v31
	v_mul_f16_e32 v31, 0xb3a8, v11
	v_add_f16_e32 v34, v34, v36
	v_fma_f16 v36, v17, s2, v35
	v_fma_f16 v35, v25, s20, v31
	v_mul_f16_e32 v40, 0xbbc4, v27
	v_fma_f16 v31, v25, s20, -v31
	v_add_f16_e32 v36, v36, v41
	v_fma_f16 v41, v17, s21, v40
	v_add_f16_e32 v31, v31, v38
	v_fma_f16 v38, v17, s19, v40
	v_mul_f16_e32 v40, 0x3b7b, v11
	v_add_f16_e32 v35, v35, v42
	v_fma_f16 v42, v25, s14, v40
	v_fma_f16 v40, v25, s14, -v40
	v_add_f16_e32 v38, v38, v43
	v_mul_f16_e32 v43, 0xb5ac, v27
	v_add_f16_e32 v40, v40, v44
	v_mul_f16_e32 v44, 0x3770, v11
	v_add_f16_e32 v41, v41, v45
	v_add_f16_e32 v42, v42, v46
	v_fma_f16 v45, v17, s11, v43
	v_fma_f16 v43, v17, s15, v43
	;; [unrolled: 1-line block ×3, first 2 shown]
	v_fma_f16 v44, v25, s7, -v44
	v_add_f16_e32 v43, v43, v47
	v_mul_f16_e32 v47, 0x3b15, v27
	v_add_f16_e32 v44, v44, v48
	v_mul_f16_e32 v48, 0xba95, v11
	v_add_f16_e32 v45, v45, v49
	v_add_f16_e32 v46, v46, v50
	v_fma_f16 v49, v17, s6, v47
	v_fma_f16 v47, v17, s10, v47
	;; [unrolled: 1-line block ×3, first 2 shown]
	v_fma_f16 v48, v25, s4, -v48
	v_mul_f16_e32 v11, 0xb94e, v11
	v_add_f16_e32 v47, v47, v51
	v_mul_f16_e32 v51, 0x388b, v27
	v_add_f16_e32 v48, v48, v52
	v_fma_f16 v52, v25, s17, v11
	v_mul_f16_e32 v27, 0xb9fd, v27
	v_fma_f16 v11, v25, s17, -v11
	v_add_f16_e32 v49, v49, v53
	v_add_f16_e32 v50, v50, v54
	v_fma_f16 v53, v17, s5, v51
	v_fma_f16 v51, v17, s3, v51
	;; [unrolled: 1-line block ×3, first 2 shown]
	v_add_f16_e32 v9, v11, v9
	v_fma_f16 v11, v17, s16, v27
	v_add_f16_e32 v17, v12, v28
	v_sub_f16_e32 v12, v12, v28
	v_add_f16_e32 v10, v11, v10
	v_add_f16_e32 v11, v18, v19
	v_sub_f16_e32 v18, v18, v19
	v_mul_f16_e32 v19, 0xbb7b, v12
	v_fma_f16 v25, v11, s14, v19
	v_mul_f16_e32 v27, 0xb5ac, v17
	v_fma_f16 v19, v11, s14, -v19
	v_fma_f16 v28, v18, s15, v27
	v_add_f16_e32 v19, v19, v29
	v_fma_f16 v27, v18, s11, v27
	v_mul_f16_e32 v29, 0x394e, v12
	v_add_f16_e32 v25, v25, v34
	v_add_f16_e32 v27, v27, v30
	v_fma_f16 v30, v11, s17, v29
	v_mul_f16_e32 v34, 0xb9fd, v17
	v_fma_f16 v29, v11, s17, -v29
	v_add_f16_e32 v30, v30, v35
	v_fma_f16 v35, v18, s16, v34
	v_add_f16_e32 v29, v29, v31
	v_fma_f16 v31, v18, s18, v34
	v_mul_f16_e32 v34, 0x3770, v12
	v_add_f16_e32 v28, v28, v36
	v_fma_f16 v36, v11, s7, v34
	v_fma_f16 v34, v11, s7, -v34
	v_add_f16_e32 v31, v31, v38
	v_mul_f16_e32 v38, 0x3b15, v17
	v_add_f16_e32 v34, v34, v40
	v_mul_f16_e32 v40, 0xbbf1, v12
	v_add_f16_e32 v35, v35, v41
	v_add_f16_e32 v36, v36, v42
	v_fma_f16 v41, v18, s6, v38
	v_fma_f16 v38, v18, s10, v38
	;; [unrolled: 1-line block ×3, first 2 shown]
	v_fma_f16 v40, v11, s1, -v40
	v_add_f16_e32 v38, v38, v43
	v_mul_f16_e32 v43, 0x2fb7, v17
	v_add_f16_e32 v40, v40, v44
	v_mul_f16_e32 v44, 0x33a8, v12
	v_add_f16_e32 v41, v41, v45
	v_add_f16_e32 v42, v42, v46
	v_fma_f16 v45, v18, s2, v43
	v_fma_f16 v43, v18, s0, v43
	;; [unrolled: 1-line block ×3, first 2 shown]
	v_fma_f16 v44, v11, s20, -v44
	v_mul_f16_e32 v12, 0x3a95, v12
	v_add_f16_e32 v43, v43, v47
	v_mul_f16_e32 v47, 0xbbc4, v17
	v_add_f16_e32 v44, v44, v48
	v_fma_f16 v48, v11, s4, v12
	v_mul_f16_e32 v17, 0x388b, v17
	v_fma_f16 v11, v11, s4, -v12
	v_add_f16_e32 v9, v11, v9
	v_fma_f16 v11, v18, s5, v17
	v_add_f16_e32 v12, v13, v16
	v_sub_f16_e32 v13, v13, v16
	v_add_f16_e32 v10, v11, v10
	v_add_f16_e32 v11, v23, v33
	v_mul_f16_e32 v16, 0xb94e, v13
	v_add_f16_e32 v45, v45, v49
	v_add_f16_e32 v46, v46, v50
	v_fma_f16 v49, v18, s19, v47
	v_fma_f16 v47, v18, s21, v47
	v_fma_f16 v50, v18, s3, v17
	v_sub_f16_e32 v17, v23, v33
	v_fma_f16 v18, v11, s17, v16
	v_mul_f16_e32 v23, 0xb9fd, v12
	v_fma_f16 v16, v11, s17, -v16
	v_add_f16_e32 v18, v18, v25
	v_fma_f16 v25, v17, s18, v23
	v_add_f16_e32 v16, v16, v19
	v_fma_f16 v19, v17, s16, v23
	v_mul_f16_e32 v23, 0x3bf1, v13
	v_add_f16_e32 v25, v25, v28
	v_add_f16_e32 v19, v19, v27
	v_fma_f16 v27, v11, s1, v23
	v_mul_f16_e32 v28, 0x2fb7, v12
	v_fma_f16 v23, v11, s1, -v23
	v_add_f16_e32 v27, v27, v30
	v_fma_f16 v30, v17, s0, v28
	v_add_f16_e32 v23, v23, v29
	v_fma_f16 v28, v17, s2, v28
	v_mul_f16_e32 v29, 0xba95, v13
	v_add_f16_e32 v28, v28, v31
	v_fma_f16 v31, v11, s4, v29
	v_fma_f16 v29, v11, s4, -v29
	v_mul_f16_e32 v33, 0x388b, v12
	v_add_f16_e32 v29, v29, v34
	v_mul_f16_e32 v34, 0x33a8, v13
	v_add_f16_e32 v30, v30, v35
	v_add_f16_e32 v31, v31, v36
	v_fma_f16 v35, v17, s5, v33
	v_fma_f16 v33, v17, s3, v33
	;; [unrolled: 1-line block ×3, first 2 shown]
	v_fma_f16 v34, v11, s20, -v34
	v_add_f16_e32 v33, v33, v38
	v_mul_f16_e32 v38, 0xbbc4, v12
	v_add_f16_e32 v34, v34, v40
	v_mul_f16_e32 v40, 0x3770, v13
	v_add_f16_e32 v35, v35, v41
	v_add_f16_e32 v36, v36, v42
	v_fma_f16 v41, v17, s19, v38
	v_fma_f16 v38, v17, s21, v38
	v_fma_f16 v42, v11, s7, v40
	v_fma_f16 v40, v11, s7, -v40
	v_mul_f16_e32 v13, 0xbb7b, v13
	v_add_f16_e32 v38, v38, v43
	v_mul_f16_e32 v43, 0x3b15, v12
	v_add_f16_e32 v40, v40, v44
	v_fma_f16 v44, v11, s14, v13
	v_mul_f16_e32 v12, 0xb5ac, v12
	v_fma_f16 v11, v11, s14, -v13
	v_add_f16_e32 v42, v42, v46
	v_fma_f16 v46, v17, s15, v12
	v_add_f16_e32 v9, v11, v9
	v_fma_f16 v11, v17, s11, v12
	v_add_f16_e32 v12, v14, v15
	v_sub_f16_e32 v14, v14, v15
	v_add_f16_e32 v10, v11, v10
	v_add_f16_e32 v11, v24, v32
	v_mul_f16_e32 v15, 0xb3a8, v14
	v_add_f16_e32 v41, v41, v45
	v_fma_f16 v45, v17, s6, v43
	v_fma_f16 v43, v17, s10, v43
	;; [unrolled: 1-line block ×3, first 2 shown]
	v_sub_f16_e32 v13, v24, v32
	v_add_f16_e32 v17, v17, v18
	v_mul_f16_e32 v18, 0xbbc4, v12
	v_fma_f16 v15, v11, s20, -v15
	v_fma_f16 v24, v13, s21, v18
	v_add_f16_e32 v15, v15, v16
	v_fma_f16 v16, v13, s19, v18
	v_mul_f16_e32 v18, 0x3770, v14
	v_add_f16_e32 v24, v24, v25
	v_add_f16_e32 v16, v16, v19
	v_fma_f16 v19, v11, s7, v18
	v_mul_f16_e32 v25, 0x3b15, v12
	v_fma_f16 v18, v11, s7, -v18
	v_add_f16_e32 v19, v19, v27
	v_fma_f16 v27, v13, s6, v25
	v_add_f16_e32 v18, v18, v23
	v_fma_f16 v23, v13, s10, v25
	v_mul_f16_e32 v25, 0xb94e, v14
	v_add_f16_e32 v27, v27, v30
	v_add_f16_e32 v23, v23, v28
	v_fma_f16 v28, v11, s17, v25
	v_mul_f16_e32 v30, 0xb9fd, v12
	v_fma_f16 v25, v11, s17, -v25
	v_add_f16_e32 v28, v28, v31
	v_fma_f16 v31, v13, s18, v30
	v_add_f16_e32 v25, v25, v29
	v_fma_f16 v29, v13, s16, v30
	v_mul_f16_e32 v30, 0x3a95, v14
	v_fma_f16 v32, v11, s4, v30
	v_fma_f16 v30, v11, s4, -v30
	v_add_f16_e32 v29, v29, v33
	v_mul_f16_e32 v33, 0x388b, v12
	v_add_f16_e32 v30, v30, v34
	v_mul_f16_e32 v34, 0xbb7b, v14
	v_add_f16_e32 v57, v57, v59
	v_add_f16_e32 v31, v31, v35
	;; [unrolled: 1-line block ×3, first 2 shown]
	v_fma_f16 v35, v13, s3, v33
	v_fma_f16 v33, v13, s5, v33
	;; [unrolled: 1-line block ×3, first 2 shown]
	v_fma_f16 v34, v11, s14, -v34
	v_mul_f16_e32 v14, 0x3bf1, v14
	v_add_f16_e32 v56, v56, v60
	v_add_f16_e32 v58, v58, v61
	;; [unrolled: 1-line block ×4, first 2 shown]
	v_mul_f16_e32 v38, 0xb5ac, v12
	v_add_f16_e32 v34, v34, v40
	v_fma_f16 v40, v11, s1, v14
	v_mul_f16_e32 v12, 0x2fb7, v12
	v_fma_f16 v11, v11, s1, -v14
	v_add_f16_e32 v52, v52, v56
	v_add_f16_e32 v54, v54, v58
	;; [unrolled: 1-line block ×4, first 2 shown]
	v_fma_f16 v11, v13, s2, v12
	v_add_f16_e32 v51, v51, v55
	v_add_f16_e32 v48, v48, v52
	;; [unrolled: 1-line block ×6, first 2 shown]
	v_fma_f16 v41, v13, s15, v38
	v_fma_f16 v42, v13, s0, v12
	v_add_f16_e32 v10, v11, v10
	v_pack_b32_f16 v11, v37, v39
	v_pack_b32_f16 v12, v17, v24
	v_add_f16_e32 v47, v47, v51
	v_add_f16_e32 v44, v44, v48
	;; [unrolled: 1-line block ×4, first 2 shown]
	ds_write2_b32 v1, v11, v12 offset1:78
	v_pack_b32_f16 v11, v19, v27
	v_pack_b32_f16 v12, v28, v31
	v_add_f16_e32 v43, v43, v47
	v_fma_f16 v38, v13, s11, v38
	v_add_f16_e32 v40, v40, v44
	v_add_f16_e32 v42, v42, v46
	ds_write2_b32 v1, v11, v12 offset0:156 offset1:234
	v_pack_b32_f16 v11, v32, v35
	v_pack_b32_f16 v12, v36, v41
	v_add_f16_e32 v38, v38, v43
	ds_write2_b32 v8, v11, v12 offset0:56 offset1:134
	v_pack_b32_f16 v8, v40, v42
	v_pack_b32_f16 v9, v9, v10
	v_add_u32_e32 v10, 0x600, v1
	ds_write2_b32 v10, v8, v9 offset0:84 offset1:162
	v_pack_b32_f16 v8, v34, v38
	v_pack_b32_f16 v9, v30, v33
	ds_write2_b32 v7, v8, v9 offset0:112 offset1:190
	v_pack_b32_f16 v7, v25, v29
	v_pack_b32_f16 v8, v18, v23
	ds_write2_b32 v6, v7, v8 offset0:12 offset1:90
	v_pack_b32_f16 v6, v15, v16
	ds_write_b32 v1, v6 offset:3744
	s_waitcnt lgkmcnt(0)
	s_barrier
	ds_read_b32 v6, v20
	v_sub_u32_e32 v9, v21, v22
	v_cmp_ne_u32_e64 s[0:1], 0, v0
                                        ; implicit-def: $vgpr12
                                        ; implicit-def: $vgpr10
                                        ; implicit-def: $vgpr11
                                        ; implicit-def: $vgpr7_vgpr8
	s_and_saveexec_b64 s[2:3], s[0:1]
	s_xor_b64 s[2:3], exec, s[2:3]
	s_cbranch_execz .LBB0_19
; %bb.18:
	v_mov_b32_e32 v1, 0
	v_lshlrev_b64 v[7:8], 2, v[0:1]
	v_mov_b32_e32 v10, s9
	v_add_co_u32_e64 v7, s[0:1], s8, v7
	v_addc_co_u32_e64 v8, s[0:1], v10, v8, s[0:1]
	global_load_dword v7, v[7:8], off offset:4004
	ds_read_b32 v8, v9 offset:4056
	s_waitcnt lgkmcnt(0)
	v_add_f16_sdwa v11, v8, v6 dst_sel:DWORD dst_unused:UNUSED_PAD src0_sel:WORD_1 src1_sel:WORD_1
	v_sub_f16_e32 v12, v6, v8
	v_add_f16_e32 v10, v8, v6
	v_sub_f16_sdwa v6, v6, v8 dst_sel:DWORD dst_unused:UNUSED_PAD src0_sel:WORD_1 src1_sel:WORD_1
	v_mul_f16_e32 v8, 0.5, v11
	v_mul_f16_e32 v12, 0.5, v12
	;; [unrolled: 1-line block ×3, first 2 shown]
	s_waitcnt vmcnt(0)
	v_lshrrev_b32_e32 v11, 16, v7
	v_mul_f16_e32 v13, v11, v12
	v_fma_f16 v14, v8, v11, v6
	v_fma_f16 v6, v8, v11, -v6
	v_fma_f16 v15, v10, 0.5, v13
	v_fma_f16 v10, v10, 0.5, -v13
	v_fma_f16 v11, -v7, v12, v14
	v_fma_f16 v12, -v7, v12, v6
	v_fma_f16 v6, v7, v8, v15
	v_fma_f16 v10, -v7, v8, v10
	v_mov_b32_e32 v8, v1
	ds_write_b16 v20, v6
	v_mov_b32_e32 v7, v0
                                        ; implicit-def: $vgpr6
.LBB0_19:
	s_andn2_saveexec_b64 s[0:1], s[2:3]
	s_cbranch_execz .LBB0_21
; %bb.20:
	ds_read_u16 v1, v21 offset:2030
	s_waitcnt lgkmcnt(1)
	v_add_f16_sdwa v11, v6, v6 dst_sel:DWORD dst_unused:UNUSED_PAD src0_sel:WORD_1 src1_sel:DWORD
	v_mov_b32_e32 v7, 0
	v_sub_f16_sdwa v10, v6, v6 dst_sel:DWORD dst_unused:UNUSED_PAD src0_sel:DWORD src1_sel:WORD_1
	v_mov_b32_e32 v8, 0
	ds_write_b16 v20, v11
	s_waitcnt lgkmcnt(1)
	v_xor_b32_e32 v1, 0x8000, v1
	v_mov_b32_e32 v11, 0
	v_mov_b32_e32 v12, 0
	ds_write_b16 v21, v1 offset:2030
.LBB0_21:
	s_or_b64 exec, exec, s[0:1]
	s_waitcnt lgkmcnt(0)
	v_mov_b32_e32 v6, 0
	v_lshlrev_b64 v[13:14], 2, v[5:6]
	v_mov_b32_e32 v1, s9
	v_add_co_u32_e64 v13, s[0:1], s8, v13
	v_addc_co_u32_e64 v14, s[0:1], v1, v14, s[0:1]
	global_load_dword v1, v[13:14], off offset:4004
	v_mov_b32_e32 v5, v6
	v_lshlrev_b64 v[5:6], 2, v[4:5]
	v_mov_b32_e32 v13, s9
	v_add_co_u32_e64 v5, s[0:1], s8, v5
	v_addc_co_u32_e64 v6, s[0:1], v13, v6, s[0:1]
	global_load_dword v13, v[5:6], off offset:4004
	s_add_u32 s0, s8, 0xfa4
	v_lshlrev_b64 v[5:6], 2, v[7:8]
	s_addc_u32 s1, s9, 0
	v_mov_b32_e32 v8, s1
	v_add_co_u32_e64 v7, s[0:1], s0, v5
	v_addc_co_u32_e64 v8, s[0:1], v8, v6, s[0:1]
	global_load_dword v14, v[7:8], off offset:936
	s_mov_b32 s0, 0x5040100
	v_perm_b32 v10, v12, v10, s0
	ds_write_b16 v20, v11 offset:2
	ds_write_b32 v9, v10 offset:4056
	ds_read_b32 v10, v26
	ds_read_b32 v11, v9 offset:3744
	global_load_dword v12, v[7:8], off offset:1248
	global_load_dword v15, v[7:8], off offset:1560
	s_mov_b32 s4, 0xffff
	v_lshl_add_u32 v4, v4, 2, v21
	v_cmp_gt_u32_e64 s[0:1], 39, v0
	s_waitcnt lgkmcnt(0)
	v_pk_add_f16 v16, v10, v11 neg_lo:[0,1] neg_hi:[0,1]
	v_pk_add_f16 v10, v10, v11
	v_bfi_b32 v11, s4, v16, v10
	v_bfi_b32 v10, s4, v10, v16
	v_pk_mul_f16 v11, v11, 0.5 op_sel_hi:[1,0]
	v_pk_mul_f16 v10, v10, 0.5 op_sel_hi:[1,0]
	s_waitcnt vmcnt(4)
	v_pk_fma_f16 v16, v1, v11, v10 op_sel:[1,0,0]
	v_pk_mul_f16 v17, v1, v11 op_sel_hi:[0,1]
	v_pk_fma_f16 v18, v1, v11, v10 op_sel:[1,0,0] neg_lo:[1,0,0] neg_hi:[1,0,0]
	v_pk_fma_f16 v1, v1, v11, v10 op_sel:[1,0,0] neg_lo:[0,0,1] neg_hi:[0,0,1]
	v_pk_add_f16 v10, v16, v17 op_sel:[0,1] op_sel_hi:[1,0]
	v_pk_add_f16 v11, v16, v17 op_sel:[0,1] op_sel_hi:[1,0] neg_lo:[0,1] neg_hi:[0,1]
	v_pk_add_f16 v16, v18, v17 op_sel:[0,1] op_sel_hi:[1,0] neg_lo:[0,1] neg_hi:[0,1]
	;; [unrolled: 1-line block ×3, first 2 shown]
	v_bfi_b32 v10, s4, v10, v11
	v_bfi_b32 v1, s4, v16, v1
	ds_write_b32 v26, v10
	ds_write_b32 v9, v1 offset:3744
	ds_read_b32 v1, v4
	ds_read_b32 v10, v9 offset:3432
	s_waitcnt lgkmcnt(0)
	v_pk_add_f16 v11, v1, v10 neg_lo:[0,1] neg_hi:[0,1]
	v_pk_add_f16 v1, v1, v10
	v_bfi_b32 v10, s4, v11, v1
	v_bfi_b32 v1, s4, v1, v11
	v_pk_mul_f16 v10, v10, 0.5 op_sel_hi:[1,0]
	v_pk_mul_f16 v1, v1, 0.5 op_sel_hi:[1,0]
	s_waitcnt vmcnt(3)
	v_pk_fma_f16 v11, v13, v10, v1 op_sel:[1,0,0]
	v_pk_mul_f16 v16, v13, v10 op_sel_hi:[0,1]
	v_pk_fma_f16 v17, v13, v10, v1 op_sel:[1,0,0] neg_lo:[1,0,0] neg_hi:[1,0,0]
	v_pk_fma_f16 v1, v13, v10, v1 op_sel:[1,0,0] neg_lo:[0,0,1] neg_hi:[0,0,1]
	v_pk_add_f16 v10, v11, v16 op_sel:[0,1] op_sel_hi:[1,0]
	v_pk_add_f16 v11, v11, v16 op_sel:[0,1] op_sel_hi:[1,0] neg_lo:[0,1] neg_hi:[0,1]
	v_pk_add_f16 v13, v17, v16 op_sel:[0,1] op_sel_hi:[1,0] neg_lo:[0,1] neg_hi:[0,1]
	;; [unrolled: 1-line block ×3, first 2 shown]
	v_bfi_b32 v10, s4, v10, v11
	v_bfi_b32 v1, s4, v13, v1
	ds_write_b32 v4, v10
	ds_write_b32 v9, v1 offset:3432
	ds_read_b32 v1, v20 offset:936
	ds_read_b32 v4, v9 offset:3120
	s_waitcnt lgkmcnt(0)
	v_pk_add_f16 v10, v1, v4 neg_lo:[0,1] neg_hi:[0,1]
	v_pk_add_f16 v1, v1, v4
	v_bfi_b32 v4, s4, v10, v1
	v_bfi_b32 v1, s4, v1, v10
	v_pk_mul_f16 v4, v4, 0.5 op_sel_hi:[1,0]
	v_pk_mul_f16 v1, v1, 0.5 op_sel_hi:[1,0]
	s_waitcnt vmcnt(2)
	v_pk_fma_f16 v10, v14, v4, v1 op_sel:[1,0,0]
	v_pk_mul_f16 v11, v14, v4 op_sel_hi:[0,1]
	v_pk_fma_f16 v13, v14, v4, v1 op_sel:[1,0,0] neg_lo:[1,0,0] neg_hi:[1,0,0]
	v_pk_fma_f16 v1, v14, v4, v1 op_sel:[1,0,0] neg_lo:[0,0,1] neg_hi:[0,0,1]
	v_pk_add_f16 v4, v10, v11 op_sel:[0,1] op_sel_hi:[1,0]
	v_pk_add_f16 v10, v10, v11 op_sel:[0,1] op_sel_hi:[1,0] neg_lo:[0,1] neg_hi:[0,1]
	v_pk_add_f16 v13, v13, v11 op_sel:[0,1] op_sel_hi:[1,0] neg_lo:[0,1] neg_hi:[0,1]
	v_pk_add_f16 v1, v1, v11 op_sel:[0,1] op_sel_hi:[1,0] neg_lo:[0,1] neg_hi:[0,1]
	v_bfi_b32 v4, s4, v4, v10
	v_bfi_b32 v1, s4, v13, v1
	ds_write_b32 v20, v4 offset:936
	ds_write_b32 v9, v1 offset:3120
	ds_read_b32 v1, v20 offset:1248
	ds_read_b32 v4, v9 offset:2808
	s_waitcnt lgkmcnt(0)
	v_pk_add_f16 v10, v1, v4 neg_lo:[0,1] neg_hi:[0,1]
	v_pk_add_f16 v1, v1, v4
	v_bfi_b32 v4, s4, v10, v1
	v_bfi_b32 v1, s4, v1, v10
	v_pk_mul_f16 v4, v4, 0.5 op_sel_hi:[1,0]
	v_pk_mul_f16 v1, v1, 0.5 op_sel_hi:[1,0]
	s_waitcnt vmcnt(1)
	v_pk_fma_f16 v10, v12, v4, v1 op_sel:[1,0,0]
	v_pk_mul_f16 v11, v12, v4 op_sel_hi:[0,1]
	v_pk_fma_f16 v13, v12, v4, v1 op_sel:[1,0,0] neg_lo:[1,0,0] neg_hi:[1,0,0]
	v_pk_fma_f16 v1, v12, v4, v1 op_sel:[1,0,0] neg_lo:[0,0,1] neg_hi:[0,0,1]
	v_pk_add_f16 v4, v10, v11 op_sel:[0,1] op_sel_hi:[1,0]
	v_pk_add_f16 v10, v10, v11 op_sel:[0,1] op_sel_hi:[1,0] neg_lo:[0,1] neg_hi:[0,1]
	v_pk_add_f16 v12, v13, v11 op_sel:[0,1] op_sel_hi:[1,0] neg_lo:[0,1] neg_hi:[0,1]
	v_pk_add_f16 v1, v1, v11 op_sel:[0,1] op_sel_hi:[1,0] neg_lo:[0,1] neg_hi:[0,1]
	v_bfi_b32 v4, s4, v4, v10
	v_bfi_b32 v1, s4, v12, v1
	ds_write_b32 v20, v4 offset:1248
	;; [unrolled: 22-line block ×3, first 2 shown]
	ds_write_b32 v9, v1 offset:2496
	s_and_saveexec_b64 s[2:3], s[0:1]
	s_cbranch_execz .LBB0_23
; %bb.22:
	global_load_dword v1, v[7:8], off offset:1872
	ds_read_b32 v4, v20 offset:1872
	ds_read_b32 v7, v9 offset:2184
	s_waitcnt lgkmcnt(0)
	v_pk_add_f16 v8, v4, v7 neg_lo:[0,1] neg_hi:[0,1]
	v_pk_add_f16 v4, v4, v7
	v_bfi_b32 v7, s4, v8, v4
	v_bfi_b32 v4, s4, v4, v8
	v_pk_mul_f16 v7, v7, 0.5 op_sel_hi:[1,0]
	v_pk_mul_f16 v4, v4, 0.5 op_sel_hi:[1,0]
	s_waitcnt vmcnt(0)
	v_pk_fma_f16 v8, v1, v7, v4 op_sel:[1,0,0]
	v_pk_mul_f16 v10, v1, v7 op_sel_hi:[0,1]
	v_pk_fma_f16 v11, v1, v7, v4 op_sel:[1,0,0] neg_lo:[1,0,0] neg_hi:[1,0,0]
	v_pk_fma_f16 v1, v1, v7, v4 op_sel:[1,0,0] neg_lo:[0,0,1] neg_hi:[0,0,1]
	v_pk_add_f16 v4, v8, v10 op_sel:[0,1] op_sel_hi:[1,0]
	v_pk_add_f16 v7, v8, v10 op_sel:[0,1] op_sel_hi:[1,0] neg_lo:[0,1] neg_hi:[0,1]
	v_pk_add_f16 v8, v11, v10 op_sel:[0,1] op_sel_hi:[1,0] neg_lo:[0,1] neg_hi:[0,1]
	;; [unrolled: 1-line block ×3, first 2 shown]
	v_bfi_b32 v4, s4, v4, v7
	v_bfi_b32 v1, s4, v8, v1
	ds_write_b32 v20, v4 offset:1872
	ds_write_b32 v9, v1 offset:2184
.LBB0_23:
	s_or_b64 exec, exec, s[2:3]
	s_waitcnt lgkmcnt(0)
	s_barrier
	s_and_saveexec_b64 s[0:1], vcc
	s_cbranch_execz .LBB0_26
; %bb.24:
	ds_read2_b32 v[7:8], v20 offset1:78
	v_mov_b32_e32 v4, s13
	v_add_co_u32_e32 v1, vcc, s12, v2
	v_addc_co_u32_e32 v2, vcc, v4, v3, vcc
	v_add_co_u32_e32 v3, vcc, v1, v5
	v_addc_co_u32_e32 v4, vcc, v2, v6, vcc
	s_waitcnt lgkmcnt(0)
	global_store_dword v[3:4], v7, off
	global_store_dword v[3:4], v8, off offset:312
	ds_read2_b32 v[5:6], v20 offset0:156 offset1:234
	v_add_u32_e32 v7, 0x400, v20
	ds_read2_b32 v[7:8], v7 offset0:56 offset1:134
	v_add_u32_e32 v9, 0x600, v20
	ds_read2_b32 v[9:10], v9 offset0:84 offset1:162
	s_waitcnt lgkmcnt(2)
	global_store_dword v[3:4], v5, off offset:624
	global_store_dword v[3:4], v6, off offset:936
	s_waitcnt lgkmcnt(1)
	global_store_dword v[3:4], v7, off offset:1248
	global_store_dword v[3:4], v8, off offset:1560
	s_waitcnt lgkmcnt(0)
	global_store_dword v[3:4], v9, off offset:1872
	v_add_u32_e32 v5, 0x800, v20
	ds_read2_b32 v[5:6], v5 offset0:112 offset1:190
	v_add_u32_e32 v7, 0xc00, v20
	ds_read2_b32 v[7:8], v7 offset0:12 offset1:90
	s_movk_i32 s0, 0x4d
	ds_read_b32 v9, v20 offset:3744
	v_cmp_eq_u32_e32 vcc, s0, v0
	global_store_dword v[3:4], v10, off offset:2184
	s_waitcnt lgkmcnt(2)
	global_store_dword v[3:4], v5, off offset:2496
	global_store_dword v[3:4], v6, off offset:2808
	s_waitcnt lgkmcnt(1)
	global_store_dword v[3:4], v7, off offset:3120
	;; [unrolled: 3-line block ×3, first 2 shown]
	s_and_b64 exec, exec, vcc
	s_cbranch_execz .LBB0_26
; %bb.25:
	ds_read_b32 v0, v20 offset:3748
	s_waitcnt lgkmcnt(0)
	global_store_dword v[1:2], v0, off offset:4056
.LBB0_26:
	s_endpgm
	.section	.rodata,"a",@progbits
	.p2align	6, 0x0
	.amdhsa_kernel fft_rtc_back_len1014_factors_13_6_13_wgs_156_tpt_78_half_ip_CI_unitstride_sbrr_R2C_dirReg
		.amdhsa_group_segment_fixed_size 0
		.amdhsa_private_segment_fixed_size 0
		.amdhsa_kernarg_size 88
		.amdhsa_user_sgpr_count 6
		.amdhsa_user_sgpr_private_segment_buffer 1
		.amdhsa_user_sgpr_dispatch_ptr 0
		.amdhsa_user_sgpr_queue_ptr 0
		.amdhsa_user_sgpr_kernarg_segment_ptr 1
		.amdhsa_user_sgpr_dispatch_id 0
		.amdhsa_user_sgpr_flat_scratch_init 0
		.amdhsa_user_sgpr_private_segment_size 0
		.amdhsa_uses_dynamic_stack 0
		.amdhsa_system_sgpr_private_segment_wavefront_offset 0
		.amdhsa_system_sgpr_workgroup_id_x 1
		.amdhsa_system_sgpr_workgroup_id_y 0
		.amdhsa_system_sgpr_workgroup_id_z 0
		.amdhsa_system_sgpr_workgroup_info 0
		.amdhsa_system_vgpr_workitem_id 0
		.amdhsa_next_free_vgpr 63
		.amdhsa_next_free_sgpr 23
		.amdhsa_reserve_vcc 1
		.amdhsa_reserve_flat_scratch 0
		.amdhsa_float_round_mode_32 0
		.amdhsa_float_round_mode_16_64 0
		.amdhsa_float_denorm_mode_32 3
		.amdhsa_float_denorm_mode_16_64 3
		.amdhsa_dx10_clamp 1
		.amdhsa_ieee_mode 1
		.amdhsa_fp16_overflow 0
		.amdhsa_exception_fp_ieee_invalid_op 0
		.amdhsa_exception_fp_denorm_src 0
		.amdhsa_exception_fp_ieee_div_zero 0
		.amdhsa_exception_fp_ieee_overflow 0
		.amdhsa_exception_fp_ieee_underflow 0
		.amdhsa_exception_fp_ieee_inexact 0
		.amdhsa_exception_int_div_zero 0
	.end_amdhsa_kernel
	.text
.Lfunc_end0:
	.size	fft_rtc_back_len1014_factors_13_6_13_wgs_156_tpt_78_half_ip_CI_unitstride_sbrr_R2C_dirReg, .Lfunc_end0-fft_rtc_back_len1014_factors_13_6_13_wgs_156_tpt_78_half_ip_CI_unitstride_sbrr_R2C_dirReg
                                        ; -- End function
	.section	.AMDGPU.csdata,"",@progbits
; Kernel info:
; codeLenInByte = 11620
; NumSgprs: 27
; NumVgprs: 63
; ScratchSize: 0
; MemoryBound: 0
; FloatMode: 240
; IeeeMode: 1
; LDSByteSize: 0 bytes/workgroup (compile time only)
; SGPRBlocks: 3
; VGPRBlocks: 15
; NumSGPRsForWavesPerEU: 27
; NumVGPRsForWavesPerEU: 63
; Occupancy: 4
; WaveLimiterHint : 1
; COMPUTE_PGM_RSRC2:SCRATCH_EN: 0
; COMPUTE_PGM_RSRC2:USER_SGPR: 6
; COMPUTE_PGM_RSRC2:TRAP_HANDLER: 0
; COMPUTE_PGM_RSRC2:TGID_X_EN: 1
; COMPUTE_PGM_RSRC2:TGID_Y_EN: 0
; COMPUTE_PGM_RSRC2:TGID_Z_EN: 0
; COMPUTE_PGM_RSRC2:TIDIG_COMP_CNT: 0
	.type	__hip_cuid_cb644a80bbd08e2,@object ; @__hip_cuid_cb644a80bbd08e2
	.section	.bss,"aw",@nobits
	.globl	__hip_cuid_cb644a80bbd08e2
__hip_cuid_cb644a80bbd08e2:
	.byte	0                               ; 0x0
	.size	__hip_cuid_cb644a80bbd08e2, 1

	.ident	"AMD clang version 19.0.0git (https://github.com/RadeonOpenCompute/llvm-project roc-6.4.0 25133 c7fe45cf4b819c5991fe208aaa96edf142730f1d)"
	.section	".note.GNU-stack","",@progbits
	.addrsig
	.addrsig_sym __hip_cuid_cb644a80bbd08e2
	.amdgpu_metadata
---
amdhsa.kernels:
  - .args:
      - .actual_access:  read_only
        .address_space:  global
        .offset:         0
        .size:           8
        .value_kind:     global_buffer
      - .offset:         8
        .size:           8
        .value_kind:     by_value
      - .actual_access:  read_only
        .address_space:  global
        .offset:         16
        .size:           8
        .value_kind:     global_buffer
      - .actual_access:  read_only
        .address_space:  global
        .offset:         24
        .size:           8
        .value_kind:     global_buffer
      - .offset:         32
        .size:           8
        .value_kind:     by_value
      - .actual_access:  read_only
        .address_space:  global
        .offset:         40
        .size:           8
        .value_kind:     global_buffer
      - .actual_access:  read_only
        .address_space:  global
        .offset:         48
        .size:           8
        .value_kind:     global_buffer
      - .offset:         56
        .size:           4
        .value_kind:     by_value
      - .actual_access:  read_only
        .address_space:  global
        .offset:         64
        .size:           8
        .value_kind:     global_buffer
      - .actual_access:  read_only
        .address_space:  global
        .offset:         72
        .size:           8
        .value_kind:     global_buffer
      - .address_space:  global
        .offset:         80
        .size:           8
        .value_kind:     global_buffer
    .group_segment_fixed_size: 0
    .kernarg_segment_align: 8
    .kernarg_segment_size: 88
    .language:       OpenCL C
    .language_version:
      - 2
      - 0
    .max_flat_workgroup_size: 156
    .name:           fft_rtc_back_len1014_factors_13_6_13_wgs_156_tpt_78_half_ip_CI_unitstride_sbrr_R2C_dirReg
    .private_segment_fixed_size: 0
    .sgpr_count:     27
    .sgpr_spill_count: 0
    .symbol:         fft_rtc_back_len1014_factors_13_6_13_wgs_156_tpt_78_half_ip_CI_unitstride_sbrr_R2C_dirReg.kd
    .uniform_work_group_size: 1
    .uses_dynamic_stack: false
    .vgpr_count:     63
    .vgpr_spill_count: 0
    .wavefront_size: 64
amdhsa.target:   amdgcn-amd-amdhsa--gfx906
amdhsa.version:
  - 1
  - 2
...

	.end_amdgpu_metadata
